;; amdgpu-corpus repo=ROCm/rocFFT kind=compiled arch=gfx1201 opt=O3
	.text
	.amdgcn_target "amdgcn-amd-amdhsa--gfx1201"
	.amdhsa_code_object_version 6
	.protected	fft_rtc_back_len1575_factors_3_3_5_7_5_wgs_63_tpt_63_halfLds_dp_ip_CI_sbrr_dirReg ; -- Begin function fft_rtc_back_len1575_factors_3_3_5_7_5_wgs_63_tpt_63_halfLds_dp_ip_CI_sbrr_dirReg
	.globl	fft_rtc_back_len1575_factors_3_3_5_7_5_wgs_63_tpt_63_halfLds_dp_ip_CI_sbrr_dirReg
	.p2align	8
	.type	fft_rtc_back_len1575_factors_3_3_5_7_5_wgs_63_tpt_63_halfLds_dp_ip_CI_sbrr_dirReg,@function
fft_rtc_back_len1575_factors_3_3_5_7_5_wgs_63_tpt_63_halfLds_dp_ip_CI_sbrr_dirReg: ; @fft_rtc_back_len1575_factors_3_3_5_7_5_wgs_63_tpt_63_halfLds_dp_ip_CI_sbrr_dirReg
; %bb.0:
	s_clause 0x2
	s_load_b64 s[12:13], s[0:1], 0x18
	s_load_b128 s[4:7], s[0:1], 0x0
	s_load_b64 s[10:11], s[0:1], 0x50
	v_mul_u32_u24_e32 v1, 0x411, v0
	v_mov_b32_e32 v3, 0
	s_delay_alu instid0(VALU_DEP_2) | instskip(NEXT) | instid1(VALU_DEP_1)
	v_lshrrev_b32_e32 v1, 16, v1
	v_add_nc_u32_e32 v5, ttmp9, v1
	v_mov_b32_e32 v1, 0
	v_mov_b32_e32 v2, 0
	;; [unrolled: 1-line block ×3, first 2 shown]
	s_wait_kmcnt 0x0
	s_load_b64 s[8:9], s[12:13], 0x0
	v_cmp_lt_u64_e64 s2, s[6:7], 2
	s_delay_alu instid0(VALU_DEP_1)
	s_and_b32 vcc_lo, exec_lo, s2
	s_cbranch_vccnz .LBB0_8
; %bb.1:
	s_load_b64 s[2:3], s[0:1], 0x10
	v_mov_b32_e32 v1, 0
	v_mov_b32_e32 v2, 0
	s_add_nc_u64 s[14:15], s[12:13], 8
	s_mov_b64 s[16:17], 1
	s_wait_kmcnt 0x0
	s_add_nc_u64 s[18:19], s[2:3], 8
	s_mov_b32 s3, 0
.LBB0_2:                                ; =>This Inner Loop Header: Depth=1
	s_load_b64 s[20:21], s[18:19], 0x0
                                        ; implicit-def: $vgpr7_vgpr8
	s_mov_b32 s2, exec_lo
	s_wait_kmcnt 0x0
	v_or_b32_e32 v4, s21, v6
	s_delay_alu instid0(VALU_DEP_1)
	v_cmpx_ne_u64_e32 0, v[3:4]
	s_wait_alu 0xfffe
	s_xor_b32 s22, exec_lo, s2
	s_cbranch_execz .LBB0_4
; %bb.3:                                ;   in Loop: Header=BB0_2 Depth=1
	s_cvt_f32_u32 s2, s20
	s_cvt_f32_u32 s23, s21
	s_sub_nc_u64 s[26:27], 0, s[20:21]
	s_wait_alu 0xfffe
	s_delay_alu instid0(SALU_CYCLE_1) | instskip(SKIP_1) | instid1(SALU_CYCLE_2)
	s_fmamk_f32 s2, s23, 0x4f800000, s2
	s_wait_alu 0xfffe
	v_s_rcp_f32 s2, s2
	s_delay_alu instid0(TRANS32_DEP_1) | instskip(SKIP_1) | instid1(SALU_CYCLE_2)
	s_mul_f32 s2, s2, 0x5f7ffffc
	s_wait_alu 0xfffe
	s_mul_f32 s23, s2, 0x2f800000
	s_wait_alu 0xfffe
	s_delay_alu instid0(SALU_CYCLE_2) | instskip(SKIP_1) | instid1(SALU_CYCLE_2)
	s_trunc_f32 s23, s23
	s_wait_alu 0xfffe
	s_fmamk_f32 s2, s23, 0xcf800000, s2
	s_cvt_u32_f32 s25, s23
	s_wait_alu 0xfffe
	s_delay_alu instid0(SALU_CYCLE_1) | instskip(SKIP_1) | instid1(SALU_CYCLE_2)
	s_cvt_u32_f32 s24, s2
	s_wait_alu 0xfffe
	s_mul_u64 s[28:29], s[26:27], s[24:25]
	s_wait_alu 0xfffe
	s_mul_hi_u32 s31, s24, s29
	s_mul_i32 s30, s24, s29
	s_mul_hi_u32 s2, s24, s28
	s_mul_i32 s33, s25, s28
	s_wait_alu 0xfffe
	s_add_nc_u64 s[30:31], s[2:3], s[30:31]
	s_mul_hi_u32 s23, s25, s28
	s_mul_hi_u32 s34, s25, s29
	s_add_co_u32 s2, s30, s33
	s_wait_alu 0xfffe
	s_add_co_ci_u32 s2, s31, s23
	s_mul_i32 s28, s25, s29
	s_add_co_ci_u32 s29, s34, 0
	s_wait_alu 0xfffe
	s_add_nc_u64 s[28:29], s[2:3], s[28:29]
	s_wait_alu 0xfffe
	v_add_co_u32 v4, s2, s24, s28
	s_delay_alu instid0(VALU_DEP_1) | instskip(SKIP_1) | instid1(VALU_DEP_1)
	s_cmp_lg_u32 s2, 0
	s_add_co_ci_u32 s25, s25, s29
	v_readfirstlane_b32 s24, v4
	s_wait_alu 0xfffe
	s_delay_alu instid0(VALU_DEP_1)
	s_mul_u64 s[26:27], s[26:27], s[24:25]
	s_wait_alu 0xfffe
	s_mul_hi_u32 s29, s24, s27
	s_mul_i32 s28, s24, s27
	s_mul_hi_u32 s2, s24, s26
	s_mul_i32 s30, s25, s26
	s_wait_alu 0xfffe
	s_add_nc_u64 s[28:29], s[2:3], s[28:29]
	s_mul_hi_u32 s23, s25, s26
	s_mul_hi_u32 s24, s25, s27
	s_wait_alu 0xfffe
	s_add_co_u32 s2, s28, s30
	s_add_co_ci_u32 s2, s29, s23
	s_mul_i32 s26, s25, s27
	s_add_co_ci_u32 s27, s24, 0
	s_wait_alu 0xfffe
	s_add_nc_u64 s[26:27], s[2:3], s[26:27]
	s_wait_alu 0xfffe
	v_add_co_u32 v4, s2, v4, s26
	s_delay_alu instid0(VALU_DEP_1) | instskip(SKIP_1) | instid1(VALU_DEP_1)
	s_cmp_lg_u32 s2, 0
	s_add_co_ci_u32 s2, s25, s27
	v_mul_hi_u32 v13, v5, v4
	s_wait_alu 0xfffe
	v_mad_co_u64_u32 v[7:8], null, v5, s2, 0
	v_mad_co_u64_u32 v[9:10], null, v6, v4, 0
	;; [unrolled: 1-line block ×3, first 2 shown]
	s_delay_alu instid0(VALU_DEP_3) | instskip(SKIP_1) | instid1(VALU_DEP_4)
	v_add_co_u32 v4, vcc_lo, v13, v7
	s_wait_alu 0xfffd
	v_add_co_ci_u32_e32 v7, vcc_lo, 0, v8, vcc_lo
	s_delay_alu instid0(VALU_DEP_2) | instskip(SKIP_1) | instid1(VALU_DEP_2)
	v_add_co_u32 v4, vcc_lo, v4, v9
	s_wait_alu 0xfffd
	v_add_co_ci_u32_e32 v4, vcc_lo, v7, v10, vcc_lo
	s_wait_alu 0xfffd
	v_add_co_ci_u32_e32 v7, vcc_lo, 0, v12, vcc_lo
	s_delay_alu instid0(VALU_DEP_2) | instskip(SKIP_1) | instid1(VALU_DEP_2)
	v_add_co_u32 v4, vcc_lo, v4, v11
	s_wait_alu 0xfffd
	v_add_co_ci_u32_e32 v9, vcc_lo, 0, v7, vcc_lo
	s_delay_alu instid0(VALU_DEP_2) | instskip(SKIP_1) | instid1(VALU_DEP_3)
	v_mul_lo_u32 v10, s21, v4
	v_mad_co_u64_u32 v[7:8], null, s20, v4, 0
	v_mul_lo_u32 v11, s20, v9
	s_delay_alu instid0(VALU_DEP_2) | instskip(NEXT) | instid1(VALU_DEP_2)
	v_sub_co_u32 v7, vcc_lo, v5, v7
	v_add3_u32 v8, v8, v11, v10
	s_delay_alu instid0(VALU_DEP_1) | instskip(SKIP_1) | instid1(VALU_DEP_1)
	v_sub_nc_u32_e32 v10, v6, v8
	s_wait_alu 0xfffd
	v_subrev_co_ci_u32_e64 v10, s2, s21, v10, vcc_lo
	v_add_co_u32 v11, s2, v4, 2
	s_wait_alu 0xf1ff
	v_add_co_ci_u32_e64 v12, s2, 0, v9, s2
	v_sub_co_u32 v13, s2, v7, s20
	v_sub_co_ci_u32_e32 v8, vcc_lo, v6, v8, vcc_lo
	s_wait_alu 0xf1ff
	v_subrev_co_ci_u32_e64 v10, s2, 0, v10, s2
	s_delay_alu instid0(VALU_DEP_3) | instskip(NEXT) | instid1(VALU_DEP_3)
	v_cmp_le_u32_e32 vcc_lo, s20, v13
	v_cmp_eq_u32_e64 s2, s21, v8
	s_wait_alu 0xfffd
	v_cndmask_b32_e64 v13, 0, -1, vcc_lo
	v_cmp_le_u32_e32 vcc_lo, s21, v10
	s_wait_alu 0xfffd
	v_cndmask_b32_e64 v14, 0, -1, vcc_lo
	v_cmp_le_u32_e32 vcc_lo, s20, v7
	;; [unrolled: 3-line block ×3, first 2 shown]
	s_wait_alu 0xfffd
	v_cndmask_b32_e64 v15, 0, -1, vcc_lo
	v_cmp_eq_u32_e32 vcc_lo, s21, v10
	s_wait_alu 0xf1ff
	s_delay_alu instid0(VALU_DEP_2)
	v_cndmask_b32_e64 v7, v15, v7, s2
	s_wait_alu 0xfffd
	v_cndmask_b32_e32 v10, v14, v13, vcc_lo
	v_add_co_u32 v13, vcc_lo, v4, 1
	s_wait_alu 0xfffd
	v_add_co_ci_u32_e32 v14, vcc_lo, 0, v9, vcc_lo
	s_delay_alu instid0(VALU_DEP_3) | instskip(SKIP_2) | instid1(VALU_DEP_3)
	v_cmp_ne_u32_e32 vcc_lo, 0, v10
	s_wait_alu 0xfffd
	v_cndmask_b32_e32 v10, v13, v11, vcc_lo
	v_cndmask_b32_e32 v8, v14, v12, vcc_lo
	v_cmp_ne_u32_e32 vcc_lo, 0, v7
	s_wait_alu 0xfffd
	s_delay_alu instid0(VALU_DEP_2)
	v_dual_cndmask_b32 v7, v4, v10 :: v_dual_cndmask_b32 v8, v9, v8
.LBB0_4:                                ;   in Loop: Header=BB0_2 Depth=1
	s_wait_alu 0xfffe
	s_and_not1_saveexec_b32 s2, s22
	s_cbranch_execz .LBB0_6
; %bb.5:                                ;   in Loop: Header=BB0_2 Depth=1
	v_cvt_f32_u32_e32 v4, s20
	s_sub_co_i32 s22, 0, s20
	s_delay_alu instid0(VALU_DEP_1) | instskip(NEXT) | instid1(TRANS32_DEP_1)
	v_rcp_iflag_f32_e32 v4, v4
	v_mul_f32_e32 v4, 0x4f7ffffe, v4
	s_delay_alu instid0(VALU_DEP_1) | instskip(SKIP_1) | instid1(VALU_DEP_1)
	v_cvt_u32_f32_e32 v4, v4
	s_wait_alu 0xfffe
	v_mul_lo_u32 v7, s22, v4
	s_delay_alu instid0(VALU_DEP_1) | instskip(NEXT) | instid1(VALU_DEP_1)
	v_mul_hi_u32 v7, v4, v7
	v_add_nc_u32_e32 v4, v4, v7
	s_delay_alu instid0(VALU_DEP_1) | instskip(NEXT) | instid1(VALU_DEP_1)
	v_mul_hi_u32 v4, v5, v4
	v_mul_lo_u32 v7, v4, s20
	v_add_nc_u32_e32 v8, 1, v4
	s_delay_alu instid0(VALU_DEP_2) | instskip(NEXT) | instid1(VALU_DEP_1)
	v_sub_nc_u32_e32 v7, v5, v7
	v_subrev_nc_u32_e32 v9, s20, v7
	v_cmp_le_u32_e32 vcc_lo, s20, v7
	s_wait_alu 0xfffd
	s_delay_alu instid0(VALU_DEP_2) | instskip(NEXT) | instid1(VALU_DEP_1)
	v_dual_cndmask_b32 v7, v7, v9 :: v_dual_cndmask_b32 v4, v4, v8
	v_cmp_le_u32_e32 vcc_lo, s20, v7
	s_delay_alu instid0(VALU_DEP_2) | instskip(SKIP_1) | instid1(VALU_DEP_1)
	v_add_nc_u32_e32 v8, 1, v4
	s_wait_alu 0xfffd
	v_dual_cndmask_b32 v7, v4, v8 :: v_dual_mov_b32 v8, v3
.LBB0_6:                                ;   in Loop: Header=BB0_2 Depth=1
	s_wait_alu 0xfffe
	s_or_b32 exec_lo, exec_lo, s2
	s_load_b64 s[22:23], s[14:15], 0x0
	s_delay_alu instid0(VALU_DEP_1)
	v_mul_lo_u32 v4, v8, s20
	v_mul_lo_u32 v11, v7, s21
	v_mad_co_u64_u32 v[9:10], null, v7, s20, 0
	s_add_nc_u64 s[16:17], s[16:17], 1
	s_add_nc_u64 s[14:15], s[14:15], 8
	s_wait_alu 0xfffe
	v_cmp_ge_u64_e64 s2, s[16:17], s[6:7]
	s_add_nc_u64 s[18:19], s[18:19], 8
	s_delay_alu instid0(VALU_DEP_2) | instskip(NEXT) | instid1(VALU_DEP_3)
	v_add3_u32 v4, v10, v11, v4
	v_sub_co_u32 v5, vcc_lo, v5, v9
	s_wait_alu 0xfffd
	s_delay_alu instid0(VALU_DEP_2) | instskip(SKIP_3) | instid1(VALU_DEP_2)
	v_sub_co_ci_u32_e32 v4, vcc_lo, v6, v4, vcc_lo
	s_and_b32 vcc_lo, exec_lo, s2
	s_wait_kmcnt 0x0
	v_mul_lo_u32 v6, s23, v5
	v_mul_lo_u32 v4, s22, v4
	v_mad_co_u64_u32 v[1:2], null, s22, v5, v[1:2]
	s_delay_alu instid0(VALU_DEP_1)
	v_add3_u32 v2, v6, v2, v4
	s_wait_alu 0xfffe
	s_cbranch_vccnz .LBB0_9
; %bb.7:                                ;   in Loop: Header=BB0_2 Depth=1
	v_dual_mov_b32 v5, v7 :: v_dual_mov_b32 v6, v8
	s_branch .LBB0_2
.LBB0_8:
	v_dual_mov_b32 v8, v6 :: v_dual_mov_b32 v7, v5
.LBB0_9:
	s_lshl_b64 s[2:3], s[6:7], 3
	v_mul_hi_u32 v3, 0x4104105, v0
	s_wait_alu 0xfffe
	s_add_nc_u64 s[2:3], s[12:13], s[2:3]
	s_load_b64 s[0:1], s[0:1], 0x20
	s_load_b64 s[2:3], s[2:3], 0x0
                                        ; implicit-def: $vgpr161
                                        ; implicit-def: $vgpr162
                                        ; implicit-def: $vgpr163
                                        ; implicit-def: $vgpr165
                                        ; implicit-def: $vgpr176
                                        ; implicit-def: $vgpr175
                                        ; implicit-def: $vgpr174
	s_delay_alu instid0(VALU_DEP_1) | instskip(NEXT) | instid1(VALU_DEP_1)
	v_mul_u32_u24_e32 v3, 63, v3
	v_sub_nc_u32_e32 v153, v0, v3
	s_delay_alu instid0(VALU_DEP_1)
	v_add_nc_u32_e32 v156, 63, v153
	v_add_nc_u32_e32 v155, 0x7e, v153
	;; [unrolled: 1-line block ×4, first 2 shown]
	s_wait_kmcnt 0x0
	v_cmp_gt_u64_e32 vcc_lo, s[0:1], v[7:8]
	v_mul_lo_u32 v3, s2, v8
	v_mul_lo_u32 v4, s3, v7
	v_mad_co_u64_u32 v[0:1], null, s2, v7, v[1:2]
	v_cmp_le_u64_e64 s0, s[0:1], v[7:8]
	v_add_nc_u32_e32 v159, 0x13b, v153
	v_add_nc_u32_e32 v158, 0x17a, v153
	;; [unrolled: 1-line block ×3, first 2 shown]
	v_add3_u32 v1, v4, v1, v3
	s_and_saveexec_b32 s1, s0
	s_wait_alu 0xfffe
	s_xor_b32 s0, exec_lo, s1
; %bb.10:
	v_add_nc_u32_e32 v161, 63, v153
	v_add_nc_u32_e32 v162, 0x7e, v153
	;; [unrolled: 1-line block ×7, first 2 shown]
; %bb.11:
	s_wait_alu 0xfffe
	s_or_saveexec_b32 s1, s0
	v_lshlrev_b64_e32 v[138:139], 4, v[0:1]
                                        ; implicit-def: $vgpr128_vgpr129
                                        ; implicit-def: $vgpr136_vgpr137
                                        ; implicit-def: $vgpr132_vgpr133
                                        ; implicit-def: $vgpr74_vgpr75
                                        ; implicit-def: $vgpr100_vgpr101
                                        ; implicit-def: $vgpr96_vgpr97
                                        ; implicit-def: $vgpr82_vgpr83
                                        ; implicit-def: $vgpr112_vgpr113
                                        ; implicit-def: $vgpr104_vgpr105
                                        ; implicit-def: $vgpr86_vgpr87
                                        ; implicit-def: $vgpr116_vgpr117
                                        ; implicit-def: $vgpr92_vgpr93
                                        ; implicit-def: $vgpr62_vgpr63
                                        ; implicit-def: $vgpr70_vgpr71
                                        ; implicit-def: $vgpr66_vgpr67
                                        ; implicit-def: $vgpr42_vgpr43
                                        ; implicit-def: $vgpr46_vgpr47
                                        ; implicit-def: $vgpr30_vgpr31
                                        ; implicit-def: $vgpr26_vgpr27
                                        ; implicit-def: $vgpr38_vgpr39
                                        ; implicit-def: $vgpr34_vgpr35
                                        ; implicit-def: $vgpr10_vgpr11
                                        ; implicit-def: $vgpr22_vgpr23
                                        ; implicit-def: $vgpr18_vgpr19
                                        ; implicit-def: $vgpr14_vgpr15
                                        ; implicit-def: $vgpr6_vgpr7
                                        ; implicit-def: $vgpr2_vgpr3
	s_wait_alu 0xfffe
	s_xor_b32 exec_lo, exec_lo, s1
	s_cbranch_execz .LBB0_15
; %bb.12:
	v_add_nc_u32_e32 v6, 0x20d, v153
	v_mad_co_u64_u32 v[0:1], null, s8, v153, 0
	v_mad_co_u64_u32 v[8:9], null, s8, v156, 0
	s_delay_alu instid0(VALU_DEP_3)
	v_mad_co_u64_u32 v[2:3], null, s8, v6, 0
	v_add_nc_u32_e32 v7, 0x41a, v153
	v_add_co_u32 v48, s0, s10, v138
	s_wait_alu 0xf1ff
	v_add_co_ci_u32_e64 v49, s0, s11, v139, s0
	v_mad_co_u64_u32 v[24:25], null, s8, v155, 0
	v_mad_co_u64_u32 v[4:5], null, s9, v153, v[1:2]
	;; [unrolled: 1-line block ×3, first 2 shown]
	v_add_nc_u32_e32 v59, 0x516, v153
	v_add_nc_u32_e32 v63, 0x348, v153
	;; [unrolled: 1-line block ×3, first 2 shown]
	s_mov_b32 s2, exec_lo
	v_mov_b32_e32 v1, v4
	v_mad_co_u64_u32 v[5:6], null, s9, v6, v[3:4]
	v_mov_b32_e32 v4, v9
	v_mad_co_u64_u32 v[10:11], null, s8, v7, 0
	v_add_nc_u32_e32 v16, 0x24c, v153
	v_lshlrev_b64_e32 v[0:1], 4, v[0:1]
	v_mad_co_u64_u32 v[54:55], null, s8, v59, 0
	v_mov_b32_e32 v3, v5
	v_mad_co_u64_u32 v[4:5], null, s9, v156, v[4:5]
	v_mov_b32_e32 v6, v11
	v_mad_co_u64_u32 v[12:13], null, s8, v16, 0
	s_delay_alu instid0(VALU_DEP_4)
	v_lshlrev_b64_e32 v[2:3], 4, v[2:3]
	v_add_co_u32 v0, s0, v48, v0
	v_mov_b32_e32 v9, v4
	v_mad_co_u64_u32 v[5:6], null, s9, v7, v[6:7]
	v_add_nc_u32_e32 v18, 0x459, v153
	s_wait_alu 0xf1ff
	v_add_co_ci_u32_e64 v1, s0, v49, v1, s0
	v_add_co_u32 v6, s0, v48, v2
	v_lshlrev_b64_e32 v[8:9], 4, v[8:9]
	v_mov_b32_e32 v11, v5
	v_mad_co_u64_u32 v[14:15], null, s8, v18, 0
	s_wait_alu 0xf1ff
	v_add_co_ci_u32_e64 v7, s0, v49, v3, s0
	s_delay_alu instid0(VALU_DEP_3)
	v_lshlrev_b64_e32 v[10:11], 4, v[10:11]
	s_clause 0x1
	global_load_b128 v[0:3], v[0:1], off
	global_load_b128 v[4:7], v[6:7], off
                                        ; implicit-def: $vgpr130_vgpr131
                                        ; implicit-def: $vgpr134_vgpr135
                                        ; implicit-def: $vgpr126_vgpr127
	v_add_nc_u32_e32 v36, 0x4d7, v153
	v_mad_co_u64_u32 v[16:17], null, s9, v16, v[13:14]
	v_add_co_u32 v10, s0, v48, v10
	s_wait_alu 0xf1ff
	v_add_co_ci_u32_e64 v11, s0, v49, v11, s0
	v_add_co_u32 v8, s0, v48, v8
	s_delay_alu instid0(VALU_DEP_4) | instskip(SKIP_4) | instid1(VALU_DEP_3)
	v_mad_co_u64_u32 v[17:18], null, s9, v18, v[15:16]
	v_dual_mov_b32 v13, v16 :: v_dual_add_nc_u32 v18, 0x28b, v153
	v_mov_b32_e32 v16, v25
	s_wait_alu 0xf1ff
	v_add_co_ci_u32_e64 v9, s0, v49, v9, s0
	v_mad_co_u64_u32 v[26:27], null, s8, v18, 0
	v_mov_b32_e32 v15, v17
	v_lshlrev_b64_e32 v[12:13], 4, v[12:13]
	v_add_nc_u32_e32 v35, 0x498, v153
	v_mad_co_u64_u32 v[16:17], null, s9, v155, v[16:17]
	s_delay_alu instid0(VALU_DEP_4)
	v_lshlrev_b64_e32 v[14:15], 4, v[14:15]
	v_mad_co_u64_u32 v[42:43], null, s8, v36, 0
	v_add_co_u32 v20, s0, v48, v12
	v_mov_b32_e32 v12, v27
	v_mad_co_u64_u32 v[30:31], null, s8, v35, 0
	s_wait_alu 0xf1ff
	v_add_co_ci_u32_e64 v21, s0, v49, v13, s0
	v_add_co_u32 v28, s0, v48, v14
	s_wait_alu 0xf1ff
	v_add_co_ci_u32_e64 v29, s0, v49, v15, s0
	v_mad_co_u64_u32 v[32:33], null, s9, v18, v[12:13]
	v_mov_b32_e32 v25, v16
	s_clause 0x3
	global_load_b128 v[12:15], v[10:11], off
	global_load_b128 v[16:19], v[8:9], off
	;; [unrolled: 1-line block ×4, first 2 shown]
	v_mov_b32_e32 v28, v31
	v_mad_co_u64_u32 v[33:34], null, s8, v154, 0
	v_lshlrev_b64_e32 v[24:25], 4, v[24:25]
	v_mov_b32_e32 v27, v32
	s_delay_alu instid0(VALU_DEP_4) | instskip(SKIP_2) | instid1(VALU_DEP_4)
	v_mad_co_u64_u32 v[28:29], null, s9, v35, v[28:29]
	v_add_nc_u32_e32 v35, 0x2ca, v153
	v_mov_b32_e32 v29, v34
	v_lshlrev_b64_e32 v[26:27], 4, v[26:27]
	v_add_co_u32 v24, s0, v48, v24
	v_mov_b32_e32 v31, v28
	s_delay_alu instid0(VALU_DEP_4) | instskip(SKIP_4) | instid1(VALU_DEP_4)
	v_mad_co_u64_u32 v[28:29], null, s9, v154, v[29:30]
	v_mad_co_u64_u32 v[40:41], null, s8, v35, 0
	s_wait_alu 0xf1ff
	v_add_co_ci_u32_e64 v25, s0, v49, v25, s0
	v_add_co_u32 v26, s0, v48, v26
	v_mov_b32_e32 v34, v28
	v_lshlrev_b64_e32 v[28:29], 4, v[30:31]
	v_mov_b32_e32 v30, v41
	s_wait_alu 0xf1ff
	v_add_co_ci_u32_e64 v27, s0, v49, v27, s0
	v_lshlrev_b64_e32 v[31:32], 4, v[33:34]
	s_delay_alu instid0(VALU_DEP_4) | instskip(SKIP_2) | instid1(VALU_DEP_3)
	v_add_co_u32 v28, s0, v48, v28
	s_wait_alu 0xf1ff
	v_add_co_ci_u32_e64 v29, s0, v49, v29, s0
	v_mad_co_u64_u32 v[33:34], null, s9, v35, v[30:31]
	v_mov_b32_e32 v30, v43
	v_add_co_u32 v43, s0, v48, v31
	s_wait_alu 0xf1ff
	v_add_co_ci_u32_e64 v44, s0, v49, v32, s0
	s_delay_alu instid0(VALU_DEP_3)
	v_mad_co_u64_u32 v[45:46], null, s9, v36, v[30:31]
	v_dual_mov_b32 v41, v33 :: v_dual_add_nc_u32 v46, 0x309, v153
	s_clause 0x3
	global_load_b128 v[32:35], v[24:25], off
	global_load_b128 v[36:39], v[26:27], off
	;; [unrolled: 1-line block ×4, first 2 shown]
	v_mov_b32_e32 v44, v51
	v_lshlrev_b64_e32 v[40:41], 4, v[40:41]
	v_mad_co_u64_u32 v[52:53], null, s8, v46, 0
	v_mov_b32_e32 v43, v45
	s_delay_alu instid0(VALU_DEP_4) | instskip(NEXT) | instid1(VALU_DEP_4)
	v_mad_co_u64_u32 v[44:45], null, s9, v152, v[44:45]
	v_add_co_u32 v40, s0, v48, v40
	s_delay_alu instid0(VALU_DEP_3) | instskip(SKIP_3) | instid1(VALU_DEP_2)
	v_lshlrev_b64_e32 v[42:43], 4, v[42:43]
	v_mov_b32_e32 v45, v53
	s_wait_alu 0xf1ff
	v_add_co_ci_u32_e64 v41, s0, v49, v41, s0
	v_mad_co_u64_u32 v[56:57], null, s9, v46, v[45:46]
	v_mad_co_u64_u32 v[57:58], null, s8, v159, 0
	v_add_co_u32 v42, s0, v48, v42
	s_wait_alu 0xf1ff
	v_add_co_ci_u32_e64 v43, s0, v49, v43, s0
	s_delay_alu instid0(VALU_DEP_4) | instskip(SKIP_3) | instid1(VALU_DEP_3)
	v_mov_b32_e32 v53, v56
	v_mad_co_u64_u32 v[55:56], null, s9, v59, v[55:56]
	v_mad_co_u64_u32 v[59:60], null, s8, v63, 0
	v_mov_b32_e32 v56, v58
	v_lshlrev_b64_e32 v[54:55], 4, v[54:55]
	s_delay_alu instid0(VALU_DEP_2) | instskip(NEXT) | instid1(VALU_DEP_4)
	v_mad_co_u64_u32 v[61:62], null, s9, v159, v[56:57]
	v_dual_mov_b32 v56, v60 :: v_dual_mov_b32 v51, v44
	s_clause 0x1
	global_load_b128 v[44:47], v[40:41], off
	global_load_b128 v[40:43], v[42:43], off
	v_mad_co_u64_u32 v[62:63], null, s9, v63, v[56:57]
	v_mov_b32_e32 v58, v61
	v_lshlrev_b64_e32 v[50:51], 4, v[50:51]
	s_delay_alu instid0(VALU_DEP_2) | instskip(NEXT) | instid1(VALU_DEP_4)
	v_lshlrev_b64_e32 v[56:57], 4, v[57:58]
	v_mov_b32_e32 v60, v62
	v_mad_co_u64_u32 v[61:62], null, s8, v158, 0
	v_add_nc_u32_e32 v65, 0x555, v153
	v_lshlrev_b64_e32 v[52:53], 4, v[52:53]
	v_add_co_u32 v50, s0, v48, v50
	s_wait_alu 0xf1ff
	v_add_co_ci_u32_e64 v51, s0, v49, v51, s0
	v_mad_co_u64_u32 v[63:64], null, s8, v65, 0
	s_delay_alu instid0(VALU_DEP_4) | instskip(SKIP_3) | instid1(VALU_DEP_4)
	v_add_co_u32 v52, s0, v48, v52
	s_wait_alu 0xf1ff
	v_add_co_ci_u32_e64 v53, s0, v49, v53, s0
	v_add_co_u32 v54, s0, v48, v54
	v_mov_b32_e32 v58, v64
	s_wait_alu 0xf1ff
	v_add_co_ci_u32_e64 v55, s0, v49, v55, s0
	v_add_co_u32 v56, s0, v48, v56
	s_delay_alu instid0(VALU_DEP_3)
	v_mad_co_u64_u32 v[64:65], null, s9, v65, v[58:59]
	v_mov_b32_e32 v58, v62
	v_lshlrev_b64_e32 v[59:60], 4, v[59:60]
	v_mad_co_u64_u32 v[65:66], null, s8, v70, 0
	v_add_nc_u32_e32 v71, 0x594, v153
	s_wait_alu 0xf1ff
	v_add_co_ci_u32_e64 v57, s0, v49, v57, s0
	s_delay_alu instid0(VALU_DEP_4)
	v_mad_co_u64_u32 v[67:68], null, s9, v158, v[58:59]
	v_add_co_u32 v72, s0, v48, v59
	v_mov_b32_e32 v58, v66
	s_wait_alu 0xf1ff
	v_add_co_ci_u32_e64 v73, s0, v49, v60, s0
	v_lshlrev_b64_e32 v[59:60], 4, v[63:64]
	v_mad_co_u64_u32 v[68:69], null, s8, v71, 0
	v_dual_mov_b32 v62, v67 :: v_dual_add_nc_u32 v67, 0x3c6, v153
	s_delay_alu instid0(VALU_DEP_3)
	v_add_co_u32 v74, s0, v48, v59
	v_mad_co_u64_u32 v[63:64], null, s9, v70, v[58:59]
	s_wait_alu 0xf1ff
	v_add_co_ci_u32_e64 v75, s0, v49, v60, s0
	v_lshlrev_b64_e32 v[59:60], 4, v[61:62]
	v_mad_co_u64_u32 v[76:77], null, s8, v67, 0
	v_mov_b32_e32 v58, v69
	v_mov_b32_e32 v66, v63
	s_delay_alu instid0(VALU_DEP_2) | instskip(SKIP_4) | instid1(VALU_DEP_3)
	v_mad_co_u64_u32 v[61:62], null, s9, v71, v[58:59]
	v_mad_co_u64_u32 v[62:63], null, s8, v157, 0
	v_add_co_u32 v58, s0, v48, v59
	s_wait_alu 0xf1ff
	v_add_co_ci_u32_e64 v59, s0, v49, v60, s0
	v_dual_mov_b32 v69, v61 :: v_dual_mov_b32 v60, v63
	s_delay_alu instid0(VALU_DEP_1) | instskip(SKIP_1) | instid1(VALU_DEP_1)
	v_mad_co_u64_u32 v[60:61], null, s9, v157, v[60:61]
	v_mov_b32_e32 v61, v77
	v_mad_co_u64_u32 v[82:83], null, s9, v67, v[61:62]
	s_delay_alu instid0(VALU_DEP_3) | instskip(SKIP_2) | instid1(VALU_DEP_4)
	v_dual_mov_b32 v63, v60 :: v_dual_add_nc_u32 v70, 0x5d3, v153
	v_lshlrev_b64_e32 v[64:65], 4, v[65:66]
	v_lshlrev_b64_e32 v[83:84], 4, v[68:69]
	v_mov_b32_e32 v77, v82
	s_delay_alu instid0(VALU_DEP_4) | instskip(NEXT) | instid1(VALU_DEP_4)
	v_mad_co_u64_u32 v[78:79], null, s8, v70, 0
	v_add_co_u32 v80, s0, v48, v64
	s_wait_alu 0xf1ff
	v_add_co_ci_u32_e64 v81, s0, v49, v65, s0
	s_delay_alu instid0(VALU_DEP_3) | instskip(NEXT) | instid1(VALU_DEP_1)
	v_mov_b32_e32 v64, v79
	v_mad_co_u64_u32 v[60:61], null, s9, v70, v[64:65]
	s_clause 0x1
	global_load_b128 v[64:67], v[50:51], off
	global_load_b128 v[68:71], v[52:53], off
	v_lshlrev_b64_e32 v[50:51], 4, v[62:63]
	v_add_co_u32 v52, s0, v48, v83
	v_lshlrev_b64_e32 v[61:62], 4, v[76:77]
	s_wait_alu 0xf1ff
	v_add_co_ci_u32_e64 v53, s0, v49, v84, s0
	v_mov_b32_e32 v79, v60
	v_add_co_u32 v50, s0, v48, v50
	s_wait_alu 0xf1ff
	v_add_co_ci_u32_e64 v51, s0, v49, v51, s0
	s_delay_alu instid0(VALU_DEP_3) | instskip(SKIP_3) | instid1(VALU_DEP_3)
	v_lshlrev_b64_e32 v[76:77], 4, v[78:79]
	v_add_co_u32 v78, s0, v48, v61
	s_wait_alu 0xf1ff
	v_add_co_ci_u32_e64 v79, s0, v49, v62, s0
	v_add_co_u32 v76, s0, v48, v76
	s_wait_alu 0xf1ff
	v_add_co_ci_u32_e64 v77, s0, v49, v77, s0
	s_clause 0x9
	global_load_b128 v[60:63], v[54:55], off
	global_load_b128 v[90:93], v[56:57], off
	;; [unrolled: 1-line block ×10, first 2 shown]
	v_cmpx_gt_u32_e32 21, v153
	s_cbranch_execz .LBB0_14
; %bb.13:
	v_add_nc_u32_e32 v56, 0x1f8, v153
	v_add_nc_u32_e32 v58, 0x405, v153
	v_add_nc_u32_e32 v59, 0x612, v153
	s_delay_alu instid0(VALU_DEP_3) | instskip(NEXT) | instid1(VALU_DEP_3)
	v_mad_co_u64_u32 v[50:51], null, s8, v56, 0
	v_mad_co_u64_u32 v[52:53], null, s8, v58, 0
	s_delay_alu instid0(VALU_DEP_3) | instskip(NEXT) | instid1(VALU_DEP_2)
	v_mad_co_u64_u32 v[54:55], null, s8, v59, 0
	v_mad_co_u64_u32 v[56:57], null, s9, v56, v[51:52]
	s_delay_alu instid0(VALU_DEP_1) | instskip(NEXT) | instid1(VALU_DEP_3)
	v_mov_b32_e32 v51, v56
	v_mad_co_u64_u32 v[57:58], null, s9, v58, v[53:54]
	s_delay_alu instid0(VALU_DEP_4) | instskip(NEXT) | instid1(VALU_DEP_3)
	v_mad_co_u64_u32 v[58:59], null, s9, v59, v[55:56]
	v_lshlrev_b64_e32 v[50:51], 4, v[50:51]
	s_delay_alu instid0(VALU_DEP_3) | instskip(NEXT) | instid1(VALU_DEP_3)
	v_mov_b32_e32 v53, v57
	v_mov_b32_e32 v55, v58
	s_delay_alu instid0(VALU_DEP_3) | instskip(NEXT) | instid1(VALU_DEP_3)
	v_add_co_u32 v50, s0, v48, v50
	v_lshlrev_b64_e32 v[52:53], 4, v[52:53]
	s_wait_alu 0xf1ff
	v_add_co_ci_u32_e64 v51, s0, v49, v51, s0
	v_lshlrev_b64_e32 v[54:55], 4, v[54:55]
	s_delay_alu instid0(VALU_DEP_3) | instskip(SKIP_2) | instid1(VALU_DEP_3)
	v_add_co_u32 v52, s0, v48, v52
	s_wait_alu 0xf1ff
	v_add_co_ci_u32_e64 v53, s0, v49, v53, s0
	v_add_co_u32 v48, s0, v48, v54
	s_wait_alu 0xf1ff
	v_add_co_ci_u32_e64 v49, s0, v49, v55, s0
	s_clause 0x2
	global_load_b128 v[130:133], v[50:51], off
	global_load_b128 v[134:137], v[52:53], off
	;; [unrolled: 1-line block ×3, first 2 shown]
.LBB0_14:
	s_wait_alu 0xfffe
	s_or_b32 exec_lo, exec_lo, s2
	v_dual_mov_b32 v174, v157 :: v_dual_mov_b32 v175, v158
	v_dual_mov_b32 v176, v159 :: v_dual_mov_b32 v165, v152
	;; [unrolled: 1-line block ×3, first 2 shown]
	v_mov_b32_e32 v161, v156
.LBB0_15:
	s_or_b32 exec_lo, exec_lo, s1
	s_wait_loadcnt 0x15
	v_add_f64_e32 v[48:49], v[12:13], v[4:5]
	s_wait_loadcnt 0x12
	v_add_f64_e32 v[50:51], v[8:9], v[20:21]
	;; [unrolled: 2-line block ×5, first 2 shown]
	v_add_f64_e32 v[88:89], v[126:127], v[134:135]
	v_add_f64_e32 v[56:57], v[60:61], v[68:69]
	;; [unrolled: 1-line block ×5, first 2 shown]
	v_add_f64_e64 v[108:109], v[6:7], -v[14:15]
	v_add_f64_e32 v[118:119], v[20:21], v[16:17]
	v_add_f64_e32 v[122:123], v[44:45], v[28:29]
	;; [unrolled: 1-line block ×6, first 2 shown]
	v_add_f64_e64 v[148:149], v[46:47], -v[42:43]
	v_add_f64_e32 v[120:121], v[36:37], v[32:33]
	v_add_f64_e32 v[124:125], v[68:69], v[64:65]
	s_mov_b32 s0, 0xe8584caa
	s_mov_b32 s1, 0xbfebb67a
	;; [unrolled: 1-line block ×3, first 2 shown]
	s_wait_alu 0xfffe
	s_mov_b32 s2, s0
	v_mad_i32_i24 v168, v163, 24, 0
	v_mad_i32_i24 v170, v176, 24, 0
	;; [unrolled: 1-line block ×3, first 2 shown]
	v_fma_f64 v[0:1], v[48:49], -0.5, v[0:1]
	v_fma_f64 v[16:17], v[50:51], -0.5, v[16:17]
	v_add_f64_e64 v[50:51], v[38:39], -v[26:27]
	v_fma_f64 v[52:53], v[52:53], -0.5, v[32:33]
	v_fma_f64 v[28:29], v[54:55], -0.5, v[28:29]
	;; [unrolled: 1-line block ×3, first 2 shown]
	v_add_f64_e64 v[94:95], v[136:137], -v[128:129]
	v_fma_f64 v[88:89], v[88:89], -0.5, v[130:131]
	v_add_f64_e64 v[48:49], v[22:23], -v[10:11]
	v_add_f64_e64 v[54:55], v[70:71], -v[62:63]
	v_fma_f64 v[56:57], v[56:57], -0.5, v[64:65]
	v_add_f64_e64 v[64:65], v[116:117], -v[86:87]
	v_fma_f64 v[58:59], v[58:59], -0.5, v[90:91]
	v_add_f64_e64 v[90:91], v[112:113], -v[82:83]
	v_fma_f64 v[76:77], v[76:77], -0.5, v[102:103]
	v_add_f64_e64 v[102:103], v[100:101], -v[74:75]
	v_add_f64_e32 v[106:107], v[12:13], v[106:107]
	v_add_f64_e32 v[130:131], v[84:85], v[140:141]
	v_add_f64_e32 v[140:141], v[80:81], v[142:143]
	v_add_f64_e32 v[142:143], v[72:73], v[144:145]
	v_add_f64_e32 v[32:33], v[126:127], v[146:147]
	v_add_f64_e32 v[118:119], v[8:9], v[118:119]
	v_add_f64_e32 v[120:121], v[24:25], v[120:121]
	v_add_f64_e32 v[122:123], v[40:41], v[122:123]
	v_add_f64_e32 v[124:125], v[60:61], v[124:125]
	v_fma_f64 v[144:145], v[108:109], s[0:1], v[0:1]
	s_wait_alu 0xfffe
	v_fma_f64 v[108:109], v[108:109], s[2:3], v[0:1]
	v_mad_i32_i24 v0, v165, 24, 0
	v_fma_f64 v[166:167], v[50:51], s[0:1], v[52:53]
	v_fma_f64 v[50:51], v[50:51], s[2:3], v[52:53]
	;; [unrolled: 1-line block ×16, first 2 shown]
	v_mul_u32_u24_e32 v28, 24, v153
	v_mad_u32_u24 v29, v153, 24, 0
	v_mad_i32_i24 v17, v161, 24, 0
	v_mad_i32_i24 v16, v162, 24, 0
	;; [unrolled: 1-line block ×3, first 2 shown]
	v_cmp_gt_u32_e64 s0, 21, v153
	v_add_nc_u32_e32 v28, 0, v28
	ds_store_2addr_b64 v29, v[106:107], v[144:145] offset1:1
	ds_store_b64 v29, v[108:109] offset:16
	ds_store_2addr_b64 v17, v[118:119], v[146:147] offset1:1
	ds_store_b64 v17, v[48:49] offset:16
	;; [unrolled: 2-line block ×8, first 2 shown]
	s_and_saveexec_b32 s1, s0
	s_cbranch_execz .LBB0_17
; %bb.16:
	v_add_nc_u32_e32 v29, 0x2f40, v28
	ds_store_2addr_b64 v29, v[32:33], v[150:151] offset1:1
	ds_store_b64 v28, v[148:149] offset:12112
.LBB0_17:
	s_wait_alu 0xfffe
	s_or_b32 exec_lo, exec_lo, s1
	v_lshl_add_u32 v164, v153, 3, 0
	v_lshlrev_b32_e32 v29, 4, v161
	v_lshlrev_b32_e32 v160, 4, v162
	v_lshlrev_b32_e32 v166, 4, v163
	v_lshlrev_b32_e32 v167, 4, v165
	v_add_nc_u32_e32 v48, 0x1000, v164
	v_add_nc_u32_e32 v49, 0x2000, v164
	v_sub_nc_u32_e32 v50, v17, v29
	v_sub_nc_u32_e32 v51, v16, v160
	v_lshlrev_b32_e32 v169, 4, v176
	global_wb scope:SCOPE_SE
	s_wait_dscnt 0x0
	s_barrier_signal -1
	s_barrier_wait -1
	global_inv scope:SCOPE_SE
	ds_load_2addr_b64 v[122:125], v48 offset0:13 offset1:76
	ds_load_2addr_b64 v[118:121], v49 offset0:26 offset1:89
	;; [unrolled: 1-line block ×4, first 2 shown]
	v_sub_nc_u32_e32 v48, v168, v166
	v_lshlrev_b32_e32 v172, 4, v175
	v_lshlrev_b32_e32 v173, 4, v174
	ds_load_b64 v[146:147], v164
	ds_load_b64 v[144:145], v50
	ds_load_b64 v[140:141], v51
	ds_load_b64 v[102:103], v48
	v_add_nc_u32_e32 v48, 0x1800, v164
	v_add_nc_u32_e32 v49, 0x2800, v164
	v_sub_nc_u32_e32 v64, v0, v167
	v_sub_nc_u32_e32 v65, v170, v169
	v_sub_nc_u32_e32 v94, v171, v172
	v_sub_nc_u32_e32 v177, v1, v173
	ds_load_2addr_b64 v[76:79], v48 offset0:9 offset1:72
	ds_load_2addr_b64 v[56:59], v49 offset0:22 offset1:85
	;; [unrolled: 1-line block ×4, first 2 shown]
	ds_load_b64 v[142:143], v64
	ds_load_b64 v[130:131], v65
	;; [unrolled: 1-line block ×4, first 2 shown]
	s_and_saveexec_b32 s1, s0
	s_cbranch_execz .LBB0_19
; %bb.18:
	ds_load_b64 v[32:33], v164 offset:4032
	ds_load_b64 v[150:151], v164 offset:8232
	;; [unrolled: 1-line block ×3, first 2 shown]
.LBB0_19:
	s_wait_alu 0xfffe
	s_or_b32 exec_lo, exec_lo, s1
	v_add_f64_e32 v[177:178], v[14:15], v[6:7]
	v_add_f64_e32 v[181:182], v[26:27], v[38:39]
	;; [unrolled: 1-line block ×10, first 2 shown]
	v_add_f64_e64 v[4:5], v[4:5], -v[12:13]
	v_add_f64_e32 v[12:13], v[22:23], v[18:19]
	v_add_f64_e32 v[22:23], v[38:39], v[34:35]
	;; [unrolled: 1-line block ×6, first 2 shown]
	v_add_f64_e64 v[8:9], v[20:21], -v[8:9]
	v_add_f64_e64 v[20:21], v[36:37], -v[24:25]
	;; [unrolled: 1-line block ×3, first 2 shown]
	v_add_f64_e32 v[100:101], v[100:101], v[96:97]
	v_add_f64_e32 v[112:113], v[112:113], v[104:105]
	v_add_f64_e64 v[72:73], v[98:99], -v[72:73]
	s_mov_b32 s2, 0xe8584caa
	s_mov_b32 s3, 0x3febb67a
	;; [unrolled: 1-line block ×3, first 2 shown]
	s_wait_alu 0xfffe
	s_mov_b32 s6, s2
	global_wb scope:SCOPE_SE
	s_wait_dscnt 0x0
	s_barrier_signal -1
	s_barrier_wait -1
	global_inv scope:SCOPE_SE
	v_fma_f64 v[2:3], v[177:178], -0.5, v[2:3]
	v_fma_f64 v[24:25], v[181:182], -0.5, v[34:35]
	v_add_f64_e64 v[34:35], v[44:45], -v[40:41]
	v_fma_f64 v[30:31], v[183:184], -0.5, v[30:31]
	v_fma_f64 v[40:41], v[185:186], -0.5, v[66:67]
	v_add_f64_e64 v[44:45], v[114:115], -v[84:85]
	v_fma_f64 v[60:61], v[187:188], -0.5, v[92:93]
	v_add_f64_e64 v[66:67], v[110:111], -v[80:81]
	;; [unrolled: 2-line block ×3, first 2 shown]
	v_fma_f64 v[92:93], v[193:194], -0.5, v[132:133]
	v_fma_f64 v[18:19], v[179:180], -0.5, v[18:19]
	;; [unrolled: 1-line block ×3, first 2 shown]
	v_add_f64_e32 v[14:15], v[14:15], v[6:7]
	v_add_f64_e32 v[10:11], v[10:11], v[12:13]
	;; [unrolled: 1-line block ×9, first 2 shown]
	v_sub_nc_u32_e32 v7, 0, v160
	v_sub_nc_u32_e32 v6, 0, v166
	v_add_nc_u32_e32 v160, 0x1f8, v153
	v_fma_f64 v[70:71], v[4:5], s[2:3], v[2:3]
	v_fma_f64 v[86:87], v[20:21], s[2:3], v[24:25]
	s_wait_alu 0xfffe
	v_fma_f64 v[20:21], v[20:21], s[6:7], v[24:25]
	v_fma_f64 v[24:25], v[34:35], s[2:3], v[30:31]
	;; [unrolled: 1-line block ×16, first 2 shown]
	v_sub_nc_u32_e32 v8, 0, v29
	v_sub_nc_u32_e32 v5, 0, v167
	;; [unrolled: 1-line block ×5, first 2 shown]
	ds_store_2addr_b64 v28, v[14:15], v[70:71] offset1:1
	ds_store_b64 v28, v[74:75] offset:16
	ds_store_2addr_b64 v17, v[10:11], v[82:83] offset1:1
	ds_store_b64 v17, v[18:19] offset:16
	;; [unrolled: 2-line block ×8, first 2 shown]
	s_and_saveexec_b32 s1, s0
	s_cbranch_execz .LBB0_21
; %bb.20:
	v_mad_u32_u24 v9, v160, 24, 0
	ds_store_2addr_b64 v9, v[46:47], v[68:69] offset1:1
	ds_store_b64 v9, v[66:67] offset:16
.LBB0_21:
	s_wait_alu 0xfffe
	s_or_b32 exec_lo, exec_lo, s1
	v_add_nc_u32_e32 v9, 0x1000, v164
	v_add_nc_u32_e32 v168, v168, v6
	;; [unrolled: 1-line block ×11, first 2 shown]
	global_wb scope:SCOPE_SE
	s_wait_dscnt 0x0
	s_barrier_signal -1
	s_barrier_wait -1
	global_inv scope:SCOPE_SE
	ds_load_2addr_b64 v[28:31], v9 offset0:13 offset1:76
	ds_load_2addr_b64 v[24:27], v10 offset0:26 offset1:89
	;; [unrolled: 1-line block ×4, first 2 shown]
	ds_load_b64 v[40:41], v164
	ds_load_b64 v[38:39], v166
	;; [unrolled: 1-line block ×4, first 2 shown]
	ds_load_2addr_b64 v[12:15], v6 offset0:9 offset1:72
	ds_load_2addr_b64 v[8:11], v42 offset0:22 offset1:85
	;; [unrolled: 1-line block ×4, first 2 shown]
	ds_load_b64 v[62:63], v169
	ds_load_b64 v[60:61], v170
	;; [unrolled: 1-line block ×4, first 2 shown]
	s_and_saveexec_b32 s1, s0
	s_cbranch_execz .LBB0_23
; %bb.22:
	ds_load_b64 v[46:47], v164 offset:4032
	ds_load_b64 v[68:69], v164 offset:8232
	ds_load_b64 v[66:67], v164 offset:12432
.LBB0_23:
	s_wait_alu 0xfffe
	s_or_b32 exec_lo, exec_lo, s1
	v_and_b32_e32 v100, 0xff, v153
	v_and_b32_e32 v173, 0xff, v161
	;; [unrolled: 1-line block ×4, first 2 shown]
	s_mov_b32 s2, 0xe8584caa
	v_mul_lo_u16 v70, 0xab, v100
	s_mov_b32 s3, 0xbfebb67a
	s_mov_b32 s7, 0x3febb67a
	s_wait_alu 0xfffe
	s_mov_b32 s6, s2
	v_lshrrev_b16 v101, 9, v70
	s_delay_alu instid0(VALU_DEP_1) | instskip(NEXT) | instid1(VALU_DEP_1)
	v_mul_lo_u16 v70, v101, 3
	v_sub_nc_u16 v70, v153, v70
	s_delay_alu instid0(VALU_DEP_1) | instskip(NEXT) | instid1(VALU_DEP_1)
	v_and_b32_e32 v105, 0xff, v70
	v_lshlrev_b32_e32 v84, 5, v105
	global_load_b128 v[72:75], v84, s[4:5]
	s_wait_loadcnt_dscnt 0xf
	v_mul_f64_e32 v[70:71], v[28:29], v[74:75]
	v_mul_f64_e32 v[74:75], v[122:123], v[74:75]
	s_delay_alu instid0(VALU_DEP_2) | instskip(NEXT) | instid1(VALU_DEP_2)
	v_fma_f64 v[70:71], v[122:123], v[72:73], v[70:71]
	v_fma_f64 v[28:29], v[28:29], v[72:73], -v[74:75]
	v_mul_lo_u16 v72, 0xab, v173
	s_delay_alu instid0(VALU_DEP_1) | instskip(NEXT) | instid1(VALU_DEP_1)
	v_lshrrev_b16 v114, 9, v72
	v_mul_lo_u16 v72, v114, 3
	s_delay_alu instid0(VALU_DEP_1) | instskip(NEXT) | instid1(VALU_DEP_1)
	v_sub_nc_u16 v72, v161, v72
	v_and_b32_e32 v115, 0xff, v72
	s_delay_alu instid0(VALU_DEP_1)
	v_lshlrev_b32_e32 v86, 5, v115
	global_load_b128 v[80:83], v86, s[4:5]
	s_wait_loadcnt 0x0
	v_mul_f64_e32 v[72:73], v[30:31], v[82:83]
	v_mul_f64_e32 v[74:75], v[124:125], v[82:83]
	global_load_b128 v[82:85], v84, s[4:5] offset:16
	v_fma_f64 v[72:73], v[124:125], v[80:81], v[72:73]
	v_fma_f64 v[30:31], v[30:31], v[80:81], -v[74:75]
	s_wait_loadcnt_dscnt 0xe
	v_mul_f64_e32 v[74:75], v[24:25], v[84:85]
	s_delay_alu instid0(VALU_DEP_1) | instskip(SKIP_1) | instid1(VALU_DEP_1)
	v_fma_f64 v[80:81], v[118:119], v[82:83], v[74:75]
	v_mul_f64_e32 v[74:75], v[118:119], v[84:85]
	v_fma_f64 v[24:25], v[24:25], v[82:83], -v[74:75]
	global_load_b128 v[82:85], v86, s[4:5] offset:16
	s_wait_loadcnt 0x0
	v_mul_f64_e32 v[74:75], v[26:27], v[84:85]
	v_mul_f64_e32 v[84:85], v[120:121], v[84:85]
	s_delay_alu instid0(VALU_DEP_2) | instskip(NEXT) | instid1(VALU_DEP_2)
	v_fma_f64 v[74:75], v[120:121], v[82:83], v[74:75]
	v_fma_f64 v[26:27], v[26:27], v[82:83], -v[84:85]
	v_mul_lo_u16 v82, 0xab, v172
	s_delay_alu instid0(VALU_DEP_1) | instskip(NEXT) | instid1(VALU_DEP_1)
	v_lshrrev_b16 v116, 9, v82
	v_mul_lo_u16 v82, v116, 3
	s_delay_alu instid0(VALU_DEP_1) | instskip(NEXT) | instid1(VALU_DEP_1)
	v_sub_nc_u16 v82, v162, v82
	v_and_b32_e32 v117, 0xff, v82
	s_delay_alu instid0(VALU_DEP_1) | instskip(SKIP_4) | instid1(VALU_DEP_2)
	v_lshlrev_b32_e32 v104, 5, v117
	global_load_b128 v[84:87], v104, s[4:5]
	s_wait_loadcnt_dscnt 0xd
	v_mul_f64_e32 v[82:83], v[20:21], v[86:87]
	v_mul_f64_e32 v[86:87], v[106:107], v[86:87]
	v_fma_f64 v[82:83], v[106:107], v[84:85], v[82:83]
	s_delay_alu instid0(VALU_DEP_2) | instskip(SKIP_1) | instid1(VALU_DEP_1)
	v_fma_f64 v[20:21], v[20:21], v[84:85], -v[86:87]
	v_mul_lo_u16 v84, 0xab, v171
	v_lshrrev_b16 v118, 9, v84
	s_delay_alu instid0(VALU_DEP_1) | instskip(NEXT) | instid1(VALU_DEP_1)
	v_mul_lo_u16 v84, v118, 3
	v_sub_nc_u16 v84, v163, v84
	s_delay_alu instid0(VALU_DEP_1) | instskip(NEXT) | instid1(VALU_DEP_1)
	v_and_b32_e32 v119, 0xff, v84
	v_lshlrev_b32_e32 v84, 5, v119
	s_clause 0x1
	global_load_b128 v[96:99], v84, s[4:5]
	global_load_b128 v[110:113], v84, s[4:5] offset:16
	s_wait_loadcnt 0x1
	v_mul_f64_e32 v[84:85], v[22:23], v[98:99]
	v_mul_f64_e32 v[86:87], v[108:109], v[98:99]
	s_delay_alu instid0(VALU_DEP_2) | instskip(NEXT) | instid1(VALU_DEP_2)
	v_fma_f64 v[84:85], v[108:109], v[96:97], v[84:85]
	v_fma_f64 v[92:93], v[22:23], v[96:97], -v[86:87]
	global_load_b128 v[96:99], v104, s[4:5] offset:16
	v_and_b32_e32 v104, 0xffff, v165
	s_wait_loadcnt_dscnt 0xc
	v_mul_f64_e32 v[22:23], v[16:17], v[98:99]
	v_mul_f64_e32 v[86:87], v[88:89], v[98:99]
	s_delay_alu instid0(VALU_DEP_2) | instskip(SKIP_1) | instid1(VALU_DEP_3)
	v_fma_f64 v[22:23], v[88:89], v[96:97], v[22:23]
	v_mul_f64_e32 v[88:89], v[90:91], v[112:113]
	v_fma_f64 v[16:17], v[16:17], v[96:97], -v[86:87]
	v_mul_f64_e32 v[86:87], v[18:19], v[112:113]
	s_delay_alu instid0(VALU_DEP_3) | instskip(SKIP_1) | instid1(VALU_DEP_3)
	v_fma_f64 v[18:19], v[18:19], v[110:111], -v[88:89]
	v_mul_u32_u24_e32 v88, 0xaaab, v104
	v_fma_f64 v[86:87], v[90:91], v[110:111], v[86:87]
	s_delay_alu instid0(VALU_DEP_2) | instskip(NEXT) | instid1(VALU_DEP_1)
	v_lshrrev_b32_e32 v120, 17, v88
	v_mul_lo_u16 v88, v120, 3
	s_delay_alu instid0(VALU_DEP_1) | instskip(NEXT) | instid1(VALU_DEP_1)
	v_sub_nc_u16 v88, v165, v88
	v_and_b32_e32 v121, 0xffff, v88
	s_delay_alu instid0(VALU_DEP_1)
	v_lshlrev_b32_e32 v88, 5, v121
	s_clause 0x1
	global_load_b128 v[96:99], v88, s[4:5]
	global_load_b128 v[106:109], v88, s[4:5] offset:16
	s_wait_loadcnt_dscnt 0x107
	v_mul_f64_e32 v[88:89], v[12:13], v[98:99]
	s_delay_alu instid0(VALU_DEP_1) | instskip(SKIP_1) | instid1(VALU_DEP_1)
	v_fma_f64 v[88:89], v[76:77], v[96:97], v[88:89]
	v_mul_f64_e32 v[76:77], v[76:77], v[98:99]
	v_fma_f64 v[76:77], v[12:13], v[96:97], -v[76:77]
	v_and_b32_e32 v12, 0xffff, v176
	s_delay_alu instid0(VALU_DEP_1) | instskip(NEXT) | instid1(VALU_DEP_1)
	v_mul_u32_u24_e32 v12, 0xaaab, v12
	v_lshrrev_b32_e32 v122, 17, v12
	s_delay_alu instid0(VALU_DEP_1) | instskip(NEXT) | instid1(VALU_DEP_1)
	v_mul_lo_u16 v12, v122, 3
	v_sub_nc_u16 v12, v176, v12
	s_delay_alu instid0(VALU_DEP_1) | instskip(NEXT) | instid1(VALU_DEP_1)
	v_and_b32_e32 v123, 0xffff, v12
	v_lshlrev_b32_e32 v12, 5, v123
	s_clause 0x1
	global_load_b128 v[96:99], v12, s[4:5]
	global_load_b128 v[110:113], v12, s[4:5] offset:16
	s_wait_loadcnt 0x1
	v_mul_f64_e32 v[12:13], v[14:15], v[98:99]
	s_delay_alu instid0(VALU_DEP_1) | instskip(SKIP_1) | instid1(VALU_DEP_1)
	v_fma_f64 v[12:13], v[78:79], v[96:97], v[12:13]
	v_mul_f64_e32 v[78:79], v[78:79], v[98:99]
	v_fma_f64 v[78:79], v[14:15], v[96:97], -v[78:79]
	s_wait_dscnt 0x6
	v_mul_f64_e32 v[14:15], v[8:9], v[108:109]
	s_delay_alu instid0(VALU_DEP_1) | instskip(SKIP_1) | instid1(VALU_DEP_1)
	v_fma_f64 v[14:15], v[56:57], v[106:107], v[14:15]
	v_mul_f64_e32 v[56:57], v[56:57], v[108:109]
	v_fma_f64 v[8:9], v[8:9], v[106:107], -v[56:57]
	s_wait_loadcnt 0x0
	v_mul_f64_e32 v[56:57], v[10:11], v[112:113]
	s_delay_alu instid0(VALU_DEP_1) | instskip(SKIP_1) | instid1(VALU_DEP_1)
	v_fma_f64 v[56:57], v[58:59], v[110:111], v[56:57]
	v_mul_f64_e32 v[58:59], v[58:59], v[112:113]
	v_fma_f64 v[10:11], v[10:11], v[110:111], -v[58:59]
	v_and_b32_e32 v58, 0xffff, v175
	s_delay_alu instid0(VALU_DEP_1) | instskip(NEXT) | instid1(VALU_DEP_1)
	v_mul_u32_u24_e32 v58, 0xaaab, v58
	v_lshrrev_b32_e32 v124, 17, v58
	s_delay_alu instid0(VALU_DEP_1) | instskip(NEXT) | instid1(VALU_DEP_1)
	v_mul_lo_u16 v58, v124, 3
	v_sub_nc_u16 v58, v175, v58
	s_delay_alu instid0(VALU_DEP_1) | instskip(NEXT) | instid1(VALU_DEP_1)
	v_and_b32_e32 v125, 0xffff, v58
	v_lshlrev_b32_e32 v58, 5, v125
	s_clause 0x1
	global_load_b128 v[96:99], v58, s[4:5]
	global_load_b128 v[106:109], v58, s[4:5] offset:16
	s_wait_loadcnt_dscnt 0x105
	v_mul_f64_e32 v[58:59], v[4:5], v[98:99]
	s_delay_alu instid0(VALU_DEP_1) | instskip(SKIP_1) | instid1(VALU_DEP_1)
	v_fma_f64 v[58:59], v[52:53], v[96:97], v[58:59]
	v_mul_f64_e32 v[52:53], v[52:53], v[98:99]
	v_fma_f64 v[90:91], v[4:5], v[96:97], -v[52:53]
	v_and_b32_e32 v4, 0xffff, v174
	s_delay_alu instid0(VALU_DEP_1) | instskip(NEXT) | instid1(VALU_DEP_1)
	v_mul_u32_u24_e32 v4, 0xaaab, v4
	v_lshrrev_b32_e32 v126, 17, v4
	s_delay_alu instid0(VALU_DEP_1) | instskip(NEXT) | instid1(VALU_DEP_1)
	v_mul_lo_u16 v4, v126, 3
	v_sub_nc_u16 v4, v174, v4
	s_delay_alu instid0(VALU_DEP_1) | instskip(NEXT) | instid1(VALU_DEP_1)
	v_and_b32_e32 v127, 0xffff, v4
	v_lshlrev_b32_e32 v4, 5, v127
	s_clause 0x1
	global_load_b128 v[96:99], v4, s[4:5]
	global_load_b128 v[110:113], v4, s[4:5] offset:16
	s_wait_loadcnt 0x1
	v_mul_f64_e32 v[4:5], v[6:7], v[98:99]
	s_delay_alu instid0(VALU_DEP_1) | instskip(SKIP_1) | instid1(VALU_DEP_1)
	v_fma_f64 v[52:53], v[54:55], v[96:97], v[4:5]
	v_mul_f64_e32 v[4:5], v[54:55], v[98:99]
	v_fma_f64 v[96:97], v[6:7], v[96:97], -v[4:5]
	s_wait_dscnt 0x4
	v_mul_f64_e32 v[4:5], v[0:1], v[108:109]
	v_add_f64_e32 v[6:7], v[146:147], v[70:71]
	s_delay_alu instid0(VALU_DEP_2) | instskip(SKIP_1) | instid1(VALU_DEP_3)
	v_fma_f64 v[54:55], v[48:49], v[106:107], v[4:5]
	v_mul_f64_e32 v[4:5], v[48:49], v[108:109]
	v_add_f64_e32 v[6:7], v[6:7], v[80:81]
	s_delay_alu instid0(VALU_DEP_2) | instskip(SKIP_2) | instid1(VALU_DEP_1)
	v_fma_f64 v[4:5], v[0:1], v[106:107], -v[4:5]
	s_wait_loadcnt 0x0
	v_mul_f64_e32 v[0:1], v[2:3], v[112:113]
	v_fma_f64 v[48:49], v[50:51], v[110:111], v[0:1]
	v_mul_f64_e32 v[0:1], v[50:51], v[112:113]
	s_delay_alu instid0(VALU_DEP_1) | instskip(SKIP_1) | instid1(VALU_DEP_1)
	v_fma_f64 v[2:3], v[2:3], v[110:111], -v[0:1]
	v_and_b32_e32 v0, 0xffff, v160
	v_mul_u32_u24_e32 v0, 0xaaab, v0
	s_delay_alu instid0(VALU_DEP_1) | instskip(NEXT) | instid1(VALU_DEP_1)
	v_lshrrev_b32_e32 v128, 17, v0
	v_mul_lo_u16 v0, v128, 3
	s_delay_alu instid0(VALU_DEP_1) | instskip(NEXT) | instid1(VALU_DEP_1)
	v_sub_nc_u16 v0, v160, v0
	v_and_b32_e32 v129, 0xffff, v0
	s_delay_alu instid0(VALU_DEP_1)
	v_lshlrev_b32_e32 v0, 5, v129
	s_clause 0x1
	global_load_b128 v[106:109], v0, s[4:5]
	global_load_b128 v[110:113], v0, s[4:5] offset:16
	global_wb scope:SCOPE_SE
	s_wait_loadcnt_dscnt 0x0
	s_barrier_signal -1
	s_barrier_wait -1
	global_inv scope:SCOPE_SE
	v_mul_f64_e32 v[0:1], v[68:69], v[108:109]
	s_delay_alu instid0(VALU_DEP_1) | instskip(SKIP_1) | instid1(VALU_DEP_1)
	v_fma_f64 v[50:51], v[150:151], v[106:107], v[0:1]
	v_mul_f64_e32 v[0:1], v[150:151], v[108:109]
	v_fma_f64 v[68:69], v[68:69], v[106:107], -v[0:1]
	v_mul_f64_e32 v[0:1], v[66:67], v[112:113]
	s_delay_alu instid0(VALU_DEP_1) | instskip(SKIP_1) | instid1(VALU_DEP_1)
	v_fma_f64 v[98:99], v[148:149], v[110:111], v[0:1]
	v_mul_f64_e32 v[0:1], v[148:149], v[112:113]
	v_fma_f64 v[66:67], v[66:67], v[110:111], -v[0:1]
	v_and_b32_e32 v0, 0xffff, v101
	v_lshlrev_b32_e32 v1, 3, v105
	v_add_f64_e64 v[105:106], v[28:29], -v[24:25]
	s_delay_alu instid0(VALU_DEP_3) | instskip(NEXT) | instid1(VALU_DEP_1)
	v_mul_u32_u24_e32 v0, 0x48, v0
	v_add3_u32 v101, 0, v0, v1
	v_add_f64_e32 v[0:1], v[70:71], v[80:81]
	s_delay_alu instid0(VALU_DEP_1) | instskip(NEXT) | instid1(VALU_DEP_1)
	v_fma_f64 v[0:1], v[0:1], -0.5, v[146:147]
	v_fma_f64 v[107:108], v[105:106], s[2:3], v[0:1]
	s_wait_alu 0xfffe
	v_fma_f64 v[0:1], v[105:106], s[6:7], v[0:1]
	ds_store_2addr_b64 v101, v[6:7], v[107:108] offset1:3
	ds_store_b64 v101, v[0:1] offset:48
	v_and_b32_e32 v0, 0xffff, v114
	v_lshlrev_b32_e32 v1, 3, v115
	v_add_f64_e64 v[106:107], v[30:31], -v[26:27]
	v_add_f64_e32 v[6:7], v[144:145], v[72:73]
	s_delay_alu instid0(VALU_DEP_4) | instskip(NEXT) | instid1(VALU_DEP_1)
	v_mul_u32_u24_e32 v0, 0x48, v0
	v_add3_u32 v105, 0, v0, v1
	v_add_f64_e32 v[0:1], v[72:73], v[74:75]
	s_delay_alu instid0(VALU_DEP_4) | instskip(NEXT) | instid1(VALU_DEP_2)
	v_add_f64_e32 v[6:7], v[6:7], v[74:75]
	v_fma_f64 v[0:1], v[0:1], -0.5, v[144:145]
	s_delay_alu instid0(VALU_DEP_1)
	v_fma_f64 v[108:109], v[106:107], s[2:3], v[0:1]
	v_fma_f64 v[0:1], v[106:107], s[6:7], v[0:1]
	ds_store_2addr_b64 v105, v[6:7], v[108:109] offset1:3
	ds_store_b64 v105, v[0:1] offset:48
	v_and_b32_e32 v0, 0xffff, v116
	v_lshlrev_b32_e32 v1, 3, v117
	v_add_f64_e64 v[107:108], v[20:21], -v[16:17]
	v_add_f64_e32 v[6:7], v[140:141], v[82:83]
	s_delay_alu instid0(VALU_DEP_4) | instskip(NEXT) | instid1(VALU_DEP_1)
	v_mul_u32_u24_e32 v0, 0x48, v0
	v_add3_u32 v106, 0, v0, v1
	v_add_f64_e32 v[0:1], v[82:83], v[22:23]
	s_delay_alu instid0(VALU_DEP_4) | instskip(NEXT) | instid1(VALU_DEP_2)
	v_add_f64_e32 v[6:7], v[6:7], v[22:23]
	v_fma_f64 v[0:1], v[0:1], -0.5, v[140:141]
	s_delay_alu instid0(VALU_DEP_1)
	v_fma_f64 v[109:110], v[107:108], s[2:3], v[0:1]
	v_fma_f64 v[0:1], v[107:108], s[6:7], v[0:1]
	ds_store_2addr_b64 v106, v[6:7], v[109:110] offset1:3
	ds_store_b64 v106, v[0:1] offset:48
	v_and_b32_e32 v0, 0xffff, v118
	v_lshlrev_b32_e32 v1, 3, v119
	v_add_f64_e32 v[6:7], v[102:103], v[84:85]
	s_delay_alu instid0(VALU_DEP_3) | instskip(NEXT) | instid1(VALU_DEP_1)
	v_mul_u32_u24_e32 v0, 0x48, v0
	v_add3_u32 v107, 0, v0, v1
	v_add_f64_e32 v[0:1], v[84:85], v[86:87]
	s_delay_alu instid0(VALU_DEP_4) | instskip(NEXT) | instid1(VALU_DEP_2)
	v_add_f64_e32 v[6:7], v[6:7], v[86:87]
	v_fma_f64 v[0:1], v[0:1], -0.5, v[102:103]
	v_add_f64_e64 v[102:103], v[92:93], -v[18:19]
	s_delay_alu instid0(VALU_DEP_1)
	v_fma_f64 v[108:109], v[102:103], s[2:3], v[0:1]
	v_fma_f64 v[0:1], v[102:103], s[6:7], v[0:1]
	ds_store_2addr_b64 v107, v[6:7], v[108:109] offset1:3
	ds_store_b64 v107, v[0:1] offset:48
	v_mul_u32_u24_e32 v0, 0x48, v120
	v_lshlrev_b32_e32 v1, 3, v121
	v_add_f64_e64 v[108:109], v[76:77], -v[8:9]
	v_add_f64_e32 v[6:7], v[142:143], v[88:89]
	s_delay_alu instid0(VALU_DEP_3) | instskip(SKIP_1) | instid1(VALU_DEP_3)
	v_add3_u32 v102, 0, v0, v1
	v_add_f64_e32 v[0:1], v[88:89], v[14:15]
	v_add_f64_e32 v[6:7], v[6:7], v[14:15]
	s_delay_alu instid0(VALU_DEP_2) | instskip(NEXT) | instid1(VALU_DEP_1)
	v_fma_f64 v[0:1], v[0:1], -0.5, v[142:143]
	v_fma_f64 v[110:111], v[108:109], s[2:3], v[0:1]
	v_fma_f64 v[0:1], v[108:109], s[6:7], v[0:1]
	v_add_f64_e64 v[108:109], v[78:79], -v[10:11]
	ds_store_2addr_b64 v102, v[6:7], v[110:111] offset1:3
	ds_store_b64 v102, v[0:1] offset:48
	v_mul_u32_u24_e32 v0, 0x48, v122
	v_lshlrev_b32_e32 v1, 3, v123
	v_add_f64_e32 v[6:7], v[130:131], v[12:13]
	s_delay_alu instid0(VALU_DEP_2) | instskip(SKIP_1) | instid1(VALU_DEP_3)
	v_add3_u32 v103, 0, v0, v1
	v_add_f64_e32 v[0:1], v[12:13], v[56:57]
	v_add_f64_e32 v[6:7], v[6:7], v[56:57]
	s_delay_alu instid0(VALU_DEP_2) | instskip(NEXT) | instid1(VALU_DEP_1)
	v_fma_f64 v[0:1], v[0:1], -0.5, v[130:131]
	v_fma_f64 v[110:111], v[108:109], s[2:3], v[0:1]
	v_fma_f64 v[0:1], v[108:109], s[6:7], v[0:1]
	ds_store_2addr_b64 v103, v[6:7], v[110:111] offset1:3
	ds_store_b64 v103, v[0:1] offset:48
	v_mul_u32_u24_e32 v0, 0x48, v124
	v_lshlrev_b32_e32 v1, 3, v125
	v_add_f64_e32 v[6:7], v[94:95], v[58:59]
	s_delay_alu instid0(VALU_DEP_2) | instskip(SKIP_1) | instid1(VALU_DEP_3)
	v_add3_u32 v108, 0, v0, v1
	v_add_f64_e32 v[0:1], v[58:59], v[54:55]
	v_add_f64_e32 v[6:7], v[6:7], v[54:55]
	s_delay_alu instid0(VALU_DEP_2) | instskip(SKIP_1) | instid1(VALU_DEP_1)
	v_fma_f64 v[0:1], v[0:1], -0.5, v[94:95]
	v_add_f64_e64 v[94:95], v[90:91], -v[4:5]
	v_fma_f64 v[109:110], v[94:95], s[2:3], v[0:1]
	v_fma_f64 v[0:1], v[94:95], s[6:7], v[0:1]
	ds_store_2addr_b64 v108, v[6:7], v[109:110] offset1:3
	ds_store_b64 v108, v[0:1] offset:48
	v_mul_u32_u24_e32 v0, 0x48, v126
	v_lshlrev_b32_e32 v1, 3, v127
	v_add_f64_e32 v[6:7], v[64:65], v[52:53]
	s_delay_alu instid0(VALU_DEP_2) | instskip(SKIP_1) | instid1(VALU_DEP_3)
	v_add3_u32 v94, 0, v0, v1
	v_add_f64_e32 v[0:1], v[52:53], v[48:49]
	v_add_f64_e32 v[6:7], v[6:7], v[48:49]
	s_delay_alu instid0(VALU_DEP_2) | instskip(SKIP_1) | instid1(VALU_DEP_1)
	v_fma_f64 v[0:1], v[0:1], -0.5, v[64:65]
	v_add_f64_e64 v[64:65], v[96:97], -v[2:3]
	v_fma_f64 v[109:110], v[64:65], s[2:3], v[0:1]
	v_fma_f64 v[0:1], v[64:65], s[6:7], v[0:1]
	v_add_f64_e64 v[64:65], v[68:69], -v[66:67]
	ds_store_2addr_b64 v94, v[6:7], v[109:110] offset1:3
	ds_store_b64 v94, v[0:1] offset:48
	v_add_f64_e32 v[0:1], v[50:51], v[98:99]
	s_delay_alu instid0(VALU_DEP_1) | instskip(NEXT) | instid1(VALU_DEP_1)
	v_fma_f64 v[0:1], v[0:1], -0.5, v[32:33]
	v_fma_f64 v[6:7], v[64:65], s[2:3], v[0:1]
	v_fma_f64 v[0:1], v[64:65], s[6:7], v[0:1]
	v_mul_lo_u16 v65, v128, 9
	v_lshlrev_b32_e32 v64, 3, v129
	s_and_saveexec_b32 s1, s0
	s_cbranch_execz .LBB0_25
; %bb.24:
	v_add_f64_e32 v[32:33], v[32:33], v[50:51]
	v_and_b32_e32 v95, 0xffff, v65
	s_delay_alu instid0(VALU_DEP_1) | instskip(NEXT) | instid1(VALU_DEP_1)
	v_lshlrev_b32_e32 v95, 3, v95
	v_add3_u32 v95, 0, v64, v95
	s_delay_alu instid0(VALU_DEP_4)
	v_add_f64_e32 v[32:33], v[32:33], v[98:99]
	ds_store_2addr_b64 v95, v[32:33], v[6:7] offset1:3
	ds_store_b64 v95, v[0:1] offset:48
.LBB0_25:
	s_wait_alu 0xfffe
	s_or_b32 exec_lo, exec_lo, s1
	v_add_f64_e32 v[32:33], v[28:29], v[24:25]
	v_add_f64_e32 v[115:116], v[76:77], v[8:9]
	;; [unrolled: 1-line block ×10, first 2 shown]
	v_add_f64_e64 v[80:81], v[70:71], -v[80:81]
	v_add_f64_e32 v[92:93], v[34:35], v[92:93]
	v_add_f64_e32 v[76:77], v[62:63], v[76:77]
	;; [unrolled: 1-line block ×3, first 2 shown]
	v_add_f64_e64 v[14:15], v[88:89], -v[14:15]
	v_add_f64_e64 v[54:55], v[58:59], -v[54:55]
	;; [unrolled: 1-line block ×3, first 2 shown]
	v_add_f64_e32 v[78:79], v[60:61], v[78:79]
	v_add_f64_e32 v[30:31], v[38:39], v[30:31]
	;; [unrolled: 1-line block ×3, first 2 shown]
	v_add_f64_e64 v[22:23], v[82:83], -v[22:23]
	v_add_f64_e32 v[90:91], v[44:45], v[90:91]
	v_add_f64_e64 v[12:13], v[12:13], -v[56:57]
	v_add_f64_e64 v[48:49], v[52:53], -v[48:49]
	v_add_nc_u32_e32 v174, 0x1000, v164
	global_wb scope:SCOPE_SE
	s_wait_dscnt 0x0
	s_barrier_signal -1
	s_barrier_wait -1
	global_inv scope:SCOPE_SE
	ds_load_b64 v[52:53], v164
	ds_load_b64 v[50:51], v167
	v_add_nc_u32_e32 v175, 0x1800, v164
	v_add_nc_u32_e32 v176, 0x800, v164
	;; [unrolled: 1-line block ×7, first 2 shown]
	v_fma_f64 v[32:33], v[32:33], -0.5, v[40:41]
	v_add_f64_e64 v[40:41], v[72:73], -v[74:75]
	v_fma_f64 v[62:63], v[115:116], -0.5, v[62:63]
	v_fma_f64 v[73:74], v[123:124], -0.5, v[46:47]
	v_fma_f64 v[38:39], v[109:110], -0.5, v[38:39]
	v_fma_f64 v[36:37], v[111:112], -0.5, v[36:37]
	v_add_f64_e64 v[71:72], v[84:85], -v[86:87]
	v_fma_f64 v[34:35], v[113:114], -0.5, v[34:35]
	v_fma_f64 v[56:57], v[117:118], -0.5, v[60:61]
	v_fma_f64 v[44:45], v[119:120], -0.5, v[44:45]
	v_fma_f64 v[42:43], v[121:122], -0.5, v[42:43]
	v_add_f64_e32 v[82:83], v[28:29], v[24:25]
	v_add_f64_e32 v[88:89], v[92:93], v[18:19]
	;; [unrolled: 1-line block ×4, first 2 shown]
	v_add_nc_u32_e32 v60, 0x2400, v164
	v_add_f64_e32 v[77:78], v[78:79], v[10:11]
	v_add_f64_e32 v[84:85], v[30:31], v[26:27]
	v_add_f64_e32 v[86:87], v[20:21], v[16:17]
	v_add_f64_e32 v[90:91], v[90:91], v[4:5]
	v_fma_f64 v[95:96], v[80:81], s[6:7], v[32:33]
	v_fma_f64 v[79:80], v[80:81], s[2:3], v[32:33]
	;; [unrolled: 1-line block ×18, first 2 shown]
	ds_load_b64 v[48:49], v168
	ds_load_b64 v[58:59], v170
	;; [unrolled: 1-line block ×4, first 2 shown]
	ds_load_b64 v[56:57], v164 offset:12096
	ds_load_2addr_b64 v[40:43], v174 offset0:118 offset1:181
	ds_load_2addr_b64 v[10:13], v175 offset0:114 offset1:177
	;; [unrolled: 1-line block ×9, first 2 shown]
	global_wb scope:SCOPE_SE
	s_wait_dscnt 0x0
	s_barrier_signal -1
	s_barrier_wait -1
	global_inv scope:SCOPE_SE
	ds_store_2addr_b64 v101, v[82:83], v[95:96] offset1:3
	ds_store_b64 v101, v[79:80] offset:48
	ds_store_2addr_b64 v105, v[84:85], v[97:98] offset1:3
	ds_store_b64 v105, v[109:110] offset:48
	;; [unrolled: 2-line block ×8, first 2 shown]
	s_and_saveexec_b32 s1, s0
	s_cbranch_execz .LBB0_27
; %bb.26:
	v_add_f64_e32 v[46:47], v[46:47], v[68:69]
	v_and_b32_e32 v61, 0xffff, v65
	s_delay_alu instid0(VALU_DEP_1) | instskip(NEXT) | instid1(VALU_DEP_1)
	v_lshlrev_b32_e32 v61, 3, v61
	v_add3_u32 v61, 0, v64, v61
	s_delay_alu instid0(VALU_DEP_4)
	v_add_f64_e32 v[46:47], v[46:47], v[66:67]
	ds_store_2addr_b64 v61, v[46:47], v[14:15] offset1:3
	ds_store_b64 v61, v[8:9] offset:48
.LBB0_27:
	s_wait_alu 0xfffe
	s_or_b32 exec_lo, exec_lo, s1
	v_mul_lo_u16 v46, v100, 57
	global_wb scope:SCOPE_SE
	s_wait_dscnt 0x0
	s_barrier_signal -1
	s_barrier_wait -1
	global_inv scope:SCOPE_SE
	v_lshrrev_b16 v46, 9, v46
	ds_load_2addr_b64 v[65:68], v174 offset0:118 offset1:181
	s_mov_b32 s14, 0x134454ff
	s_mov_b32 s15, 0xbfee6f0e
	s_mov_b32 s17, 0x3fee6f0e
	v_mul_lo_u16 v47, v46, 9
	s_mov_b32 s16, s14
	s_mov_b32 s6, 0x4755a5e
	;; [unrolled: 1-line block ×4, first 2 shown]
	v_sub_nc_u16 v47, v153, v47
	s_wait_alu 0xfffe
	s_mov_b32 s12, s6
	s_mov_b32 s2, 0x372fe950
	;; [unrolled: 1-line block ×3, first 2 shown]
	v_cmp_gt_u32_e64 s0, 36, v153
	v_and_b32_e32 v47, 0xff, v47
	s_delay_alu instid0(VALU_DEP_1)
	v_lshlrev_b32_e32 v80, 6, v47
	s_clause 0x1
	global_load_b128 v[61:64], v80, s[4:5] offset:112
	global_load_b128 v[140:143], v80, s[4:5] offset:96
	s_wait_loadcnt_dscnt 0x100
	v_mul_f64_e32 v[71:72], v[65:66], v[63:64]
	s_delay_alu instid0(VALU_DEP_1) | instskip(SKIP_1) | instid1(VALU_DEP_1)
	v_fma_f64 v[72:73], v[40:41], v[61:62], v[71:72]
	v_mul_f64_e32 v[40:41], v[40:41], v[63:64]
	v_fma_f64 v[64:65], v[65:66], v[61:62], -v[40:41]
	v_mul_lo_u16 v40, v173, 57
	s_delay_alu instid0(VALU_DEP_1) | instskip(NEXT) | instid1(VALU_DEP_1)
	v_lshrrev_b16 v105, 9, v40
	v_mul_lo_u16 v40, v105, 9
	s_delay_alu instid0(VALU_DEP_1) | instskip(NEXT) | instid1(VALU_DEP_1)
	v_sub_nc_u16 v40, v161, v40
	v_and_b32_e32 v106, 0xff, v40
	s_delay_alu instid0(VALU_DEP_1)
	v_lshlrev_b32_e32 v71, 6, v106
	s_clause 0x1
	global_load_b128 v[76:79], v71, s[4:5] offset:112
	global_load_b128 v[88:91], v71, s[4:5] offset:96
	s_wait_loadcnt 0x1
	v_mul_f64_e32 v[40:41], v[67:68], v[78:79]
	s_delay_alu instid0(VALU_DEP_1) | instskip(SKIP_1) | instid1(VALU_DEP_1)
	v_fma_f64 v[74:75], v[42:43], v[76:77], v[40:41]
	v_mul_f64_e32 v[40:41], v[42:43], v[78:79]
	v_fma_f64 v[68:69], v[67:68], v[76:77], -v[40:41]
	ds_load_2addr_b64 v[40:43], v60 offset0:108 offset1:171
	s_clause 0x3
	global_load_b128 v[60:63], v80, s[4:5] offset:144
	global_load_b128 v[124:127], v80, s[4:5] offset:128
	;; [unrolled: 1-line block ×4, first 2 shown]
	s_wait_loadcnt_dscnt 0x300
	v_mul_f64_e32 v[66:67], v[40:41], v[62:63]
	s_delay_alu instid0(VALU_DEP_1) | instskip(SKIP_1) | instid1(VALU_DEP_1)
	v_fma_f64 v[84:85], v[36:37], v[60:61], v[66:67]
	v_mul_f64_e32 v[36:37], v[36:37], v[62:63]
	v_fma_f64 v[60:61], v[40:41], v[60:61], -v[36:37]
	s_wait_loadcnt 0x1
	v_mul_f64_e32 v[36:37], v[42:43], v[78:79]
	s_delay_alu instid0(VALU_DEP_1) | instskip(SKIP_1) | instid1(VALU_DEP_1)
	v_fma_f64 v[82:83], v[38:39], v[76:77], v[36:37]
	v_mul_f64_e32 v[36:37], v[38:39], v[78:79]
	v_fma_f64 v[62:63], v[42:43], v[76:77], -v[36:37]
	ds_load_2addr_b64 v[36:39], v176 offset0:122 offset1:185
	s_wait_dscnt 0x0
	v_mul_f64_e32 v[40:41], v[36:37], v[90:91]
	s_delay_alu instid0(VALU_DEP_1) | instskip(SKIP_1) | instid1(VALU_DEP_1)
	v_fma_f64 v[86:87], v[32:33], v[88:89], v[40:41]
	v_mul_f64_e32 v[32:33], v[32:33], v[90:91]
	v_fma_f64 v[76:77], v[36:37], v[88:89], -v[32:33]
	v_mul_lo_u16 v32, v172, 57
	s_delay_alu instid0(VALU_DEP_1) | instskip(NEXT) | instid1(VALU_DEP_1)
	v_lshrrev_b16 v107, 9, v32
	v_mul_lo_u16 v32, v107, 9
	s_delay_alu instid0(VALU_DEP_1) | instskip(NEXT) | instid1(VALU_DEP_1)
	v_sub_nc_u16 v32, v162, v32
	v_and_b32_e32 v112, 0xff, v32
	s_delay_alu instid0(VALU_DEP_1)
	v_lshlrev_b32_e32 v71, 6, v112
	s_clause 0x1
	global_load_b128 v[40:43], v71, s[4:5] offset:96
	global_load_b128 v[100:103], v71, s[4:5] offset:112
	s_wait_loadcnt 0x1
	v_mul_f64_e32 v[32:33], v[38:39], v[42:43]
	s_delay_alu instid0(VALU_DEP_1) | instskip(SKIP_1) | instid1(VALU_DEP_1)
	v_fma_f64 v[90:91], v[34:35], v[40:41], v[32:33]
	v_mul_f64_e32 v[32:33], v[34:35], v[42:43]
	v_fma_f64 v[78:79], v[38:39], v[40:41], -v[32:33]
	ds_load_2addr_b64 v[32:35], v70 offset0:112 offset1:175
	s_wait_dscnt 0x0
	v_mul_f64_e32 v[36:37], v[32:33], v[96:97]
	s_delay_alu instid0(VALU_DEP_1) | instskip(SKIP_4) | instid1(VALU_DEP_1)
	v_fma_f64 v[92:93], v[28:29], v[94:95], v[36:37]
	s_clause 0x1
	global_load_b128 v[36:39], v71, s[4:5] offset:128
	global_load_b128 v[40:43], v71, s[4:5] offset:144
	v_mul_f64_e32 v[28:29], v[28:29], v[96:97]
	v_fma_f64 v[66:67], v[32:33], v[94:95], -v[28:29]
	s_wait_loadcnt 0x1
	v_mul_f64_e32 v[28:29], v[34:35], v[38:39]
	s_delay_alu instid0(VALU_DEP_1) | instskip(SKIP_1) | instid1(VALU_DEP_1)
	v_fma_f64 v[94:95], v[30:31], v[36:37], v[28:29]
	v_mul_f64_e32 v[28:29], v[30:31], v[38:39]
	v_fma_f64 v[70:71], v[34:35], v[36:37], -v[28:29]
	ds_load_2addr_b64 v[28:31], v177 offset0:116 offset1:179
	s_wait_dscnt 0x0
	v_mul_f64_e32 v[32:33], v[28:29], v[102:103]
	s_delay_alu instid0(VALU_DEP_1) | instskip(SKIP_1) | instid1(VALU_DEP_1)
	v_fma_f64 v[98:99], v[24:25], v[100:101], v[32:33]
	v_mul_f64_e32 v[24:25], v[24:25], v[102:103]
	v_fma_f64 v[80:81], v[28:29], v[100:101], -v[24:25]
	v_mul_lo_u16 v24, v171, 57
	s_delay_alu instid0(VALU_DEP_1) | instskip(NEXT) | instid1(VALU_DEP_1)
	v_lshrrev_b16 v102, 9, v24
	v_mul_lo_u16 v24, v102, 9
	s_delay_alu instid0(VALU_DEP_1) | instskip(NEXT) | instid1(VALU_DEP_1)
	v_sub_nc_u16 v24, v163, v24
	v_and_b32_e32 v103, 0xff, v24
	s_delay_alu instid0(VALU_DEP_1)
	v_lshlrev_b32_e32 v96, 6, v103
	s_clause 0x1
	global_load_b128 v[32:35], v96, s[4:5] offset:112
	global_load_b128 v[36:39], v96, s[4:5] offset:96
	s_wait_loadcnt 0x1
	v_mul_f64_e32 v[24:25], v[30:31], v[34:35]
	s_delay_alu instid0(VALU_DEP_1) | instskip(SKIP_1) | instid1(VALU_DEP_1)
	v_fma_f64 v[100:101], v[26:27], v[32:33], v[24:25]
	v_mul_f64_e32 v[24:25], v[26:27], v[34:35]
	v_fma_f64 v[88:89], v[30:31], v[32:33], -v[24:25]
	ds_load_2addr_b64 v[24:27], v178 offset0:106 offset1:169
	s_wait_dscnt 0x0
	v_mul_f64_e32 v[28:29], v[24:25], v[42:43]
	s_delay_alu instid0(VALU_DEP_1) | instskip(SKIP_4) | instid1(VALU_DEP_1)
	v_fma_f64 v[114:115], v[20:21], v[40:41], v[28:29]
	s_clause 0x1
	global_load_b128 v[28:31], v96, s[4:5] offset:144
	global_load_b128 v[32:35], v96, s[4:5] offset:128
	v_mul_f64_e32 v[20:21], v[20:21], v[42:43]
	v_fma_f64 v[20:21], v[24:25], v[40:41], -v[20:21]
	s_wait_loadcnt 0x1
	v_mul_f64_e32 v[24:25], v[26:27], v[30:31]
	s_delay_alu instid0(VALU_DEP_1) | instskip(SKIP_1) | instid1(VALU_DEP_1)
	v_fma_f64 v[118:119], v[22:23], v[28:29], v[24:25]
	v_mul_f64_e32 v[22:23], v[22:23], v[30:31]
	v_fma_f64 v[22:23], v[26:27], v[28:29], -v[22:23]
	ds_load_2addr_b64 v[24:27], v180 offset0:120 offset1:183
	s_wait_dscnt 0x0
	v_mul_f64_e32 v[28:29], v[24:25], v[38:39]
	s_delay_alu instid0(VALU_DEP_1) | instskip(SKIP_1) | instid1(VALU_DEP_1)
	v_fma_f64 v[120:121], v[16:17], v[36:37], v[28:29]
	v_mul_f64_e32 v[16:17], v[16:17], v[38:39]
	v_fma_f64 v[108:109], v[24:25], v[36:37], -v[16:17]
	v_mul_u32_u24_e32 v16, 0xe38f, v104
	s_delay_alu instid0(VALU_DEP_1) | instskip(NEXT) | instid1(VALU_DEP_1)
	v_lshrrev_b32_e32 v40, 19, v16
	v_mul_lo_u16 v16, v40, 9
	s_delay_alu instid0(VALU_DEP_1) | instskip(NEXT) | instid1(VALU_DEP_1)
	v_sub_nc_u16 v16, v165, v16
	v_and_b32_e32 v41, 0xffff, v16
	s_delay_alu instid0(VALU_DEP_1)
	v_lshlrev_b32_e32 v42, 6, v41
	s_clause 0x1
	global_load_b128 v[28:31], v42, s[4:5] offset:96
	global_load_b128 v[36:39], v42, s[4:5] offset:112
	s_wait_loadcnt 0x1
	v_mul_f64_e32 v[16:17], v[26:27], v[30:31]
	s_delay_alu instid0(VALU_DEP_1) | instskip(SKIP_1) | instid1(VALU_DEP_1)
	v_fma_f64 v[122:123], v[18:19], v[28:29], v[16:17]
	v_mul_f64_e32 v[16:17], v[18:19], v[30:31]
	v_fma_f64 v[110:111], v[26:27], v[28:29], -v[16:17]
	ds_load_2addr_b64 v[16:19], v175 offset0:114 offset1:177
	s_wait_dscnt 0x0
	v_mul_f64_e32 v[24:25], v[18:19], v[126:127]
	s_delay_alu instid0(VALU_DEP_1) | instskip(SKIP_1) | instid1(VALU_DEP_1)
	v_fma_f64 v[130:131], v[12:13], v[124:125], v[24:25]
	v_mul_f64_e32 v[12:13], v[12:13], v[126:127]
	v_fma_f64 v[12:13], v[18:19], v[124:125], -v[12:13]
	s_wait_loadcnt 0x0
	v_mul_f64_e32 v[18:19], v[16:17], v[38:39]
	s_delay_alu instid0(VALU_DEP_1) | instskip(SKIP_1) | instid1(VALU_DEP_1)
	v_fma_f64 v[124:125], v[10:11], v[36:37], v[18:19]
	v_mul_f64_e32 v[10:11], v[10:11], v[38:39]
	v_fma_f64 v[116:117], v[16:17], v[36:37], -v[10:11]
	ds_load_2addr_b64 v[16:19], v179 offset0:110 offset1:173
	s_clause 0x1
	global_load_b128 v[24:27], v42, s[4:5] offset:128
	global_load_b128 v[28:31], v42, s[4:5] offset:144
	v_add_f64_e64 v[36:37], v[130:131], -v[84:85]
	s_wait_dscnt 0x0
	v_mul_f64_e32 v[10:11], v[16:17], v[34:35]
	s_delay_alu instid0(VALU_DEP_1) | instskip(SKIP_1) | instid1(VALU_DEP_1)
	v_fma_f64 v[126:127], v[2:3], v[32:33], v[10:11]
	v_mul_f64_e32 v[2:3], v[2:3], v[34:35]
	v_fma_f64 v[10:11], v[16:17], v[32:33], -v[2:3]
	v_add_f64_e64 v[32:33], v[64:65], -v[12:13]
	s_wait_loadcnt 0x1
	v_mul_f64_e32 v[2:3], v[18:19], v[26:27]
	s_delay_alu instid0(VALU_DEP_1) | instskip(SKIP_1) | instid1(VALU_DEP_1)
	v_fma_f64 v[128:129], v[4:5], v[24:25], v[2:3]
	v_mul_f64_e32 v[2:3], v[4:5], v[26:27]
	v_fma_f64 v[96:97], v[18:19], v[24:25], -v[2:3]
	ds_load_b64 v[2:3], v170
	ds_load_b64 v[134:135], v169
	s_wait_dscnt 0x1
	v_mul_f64_e32 v[4:5], v[2:3], v[142:143]
	v_add_f64_e64 v[24:25], v[116:117], -v[96:97]
	s_delay_alu instid0(VALU_DEP_2) | instskip(SKIP_1) | instid1(VALU_DEP_1)
	v_fma_f64 v[146:147], v[58:59], v[140:141], v[4:5]
	v_mul_f64_e32 v[4:5], v[58:59], v[142:143]
	v_fma_f64 v[144:145], v[2:3], v[140:141], -v[4:5]
	ds_load_b64 v[2:3], v164 offset:12096
	ds_load_b64 v[140:141], v166
	ds_load_b64 v[142:143], v164
	;; [unrolled: 1-line block ×4, first 2 shown]
	global_wb scope:SCOPE_SE
	s_wait_loadcnt_dscnt 0x0
	s_barrier_signal -1
	s_barrier_wait -1
	global_inv scope:SCOPE_SE
	v_mul_f64_e32 v[4:5], v[2:3], v[30:31]
	s_delay_alu instid0(VALU_DEP_1) | instskip(SKIP_2) | instid1(VALU_DEP_2)
	v_fma_f64 v[136:137], v[56:57], v[28:29], v[4:5]
	v_mul_f64_e32 v[4:5], v[56:57], v[30:31]
	v_add_f64_e64 v[30:31], v[144:145], -v[60:61]
	v_fma_f64 v[132:133], v[2:3], v[28:29], -v[4:5]
	v_add_f64_e64 v[2:3], v[124:125], -v[122:123]
	v_add_f64_e64 v[4:5], v[128:129], -v[136:137]
	v_add_f64_e32 v[28:29], v[72:73], v[130:131]
	s_delay_alu instid0(VALU_DEP_4) | instskip(NEXT) | instid1(VALU_DEP_3)
	v_add_f64_e64 v[26:27], v[110:111], -v[132:133]
	v_add_f64_e32 v[2:3], v[2:3], v[4:5]
	v_add_f64_e32 v[4:5], v[122:123], v[136:137]
	s_delay_alu instid0(VALU_DEP_4) | instskip(NEXT) | instid1(VALU_DEP_2)
	v_fma_f64 v[28:29], v[28:29], -0.5, v[52:53]
	v_fma_f64 v[4:5], v[4:5], -0.5, v[44:45]
	s_delay_alu instid0(VALU_DEP_2) | instskip(NEXT) | instid1(VALU_DEP_2)
	v_fma_f64 v[34:35], v[30:31], s[14:15], v[28:29]
	v_fma_f64 v[16:17], v[24:25], s[16:17], v[4:5]
	;; [unrolled: 1-line block ×3, first 2 shown]
	s_delay_alu instid0(VALU_DEP_3) | instskip(NEXT) | instid1(VALU_DEP_3)
	v_fma_f64 v[34:35], v[32:33], s[6:7], v[34:35]
	v_fma_f64 v[16:17], v[26:27], s[6:7], v[16:17]
	s_delay_alu instid0(VALU_DEP_3) | instskip(SKIP_1) | instid1(VALU_DEP_2)
	v_fma_f64 v[4:5], v[26:27], s[12:13], v[4:5]
	s_wait_alu 0xfffe
	v_fma_f64 v[16:17], v[2:3], s[2:3], v[16:17]
	s_delay_alu instid0(VALU_DEP_2) | instskip(SKIP_2) | instid1(VALU_DEP_1)
	v_fma_f64 v[18:19], v[2:3], s[2:3], v[4:5]
	v_add_f64_e64 v[2:3], v[146:147], -v[72:73]
	v_add_f64_e64 v[4:5], v[84:85], -v[130:131]
	v_add_f64_e32 v[2:3], v[2:3], v[4:5]
	v_and_b32_e32 v4, 0xffff, v46
	v_lshlrev_b32_e32 v5, 3, v47
	s_delay_alu instid0(VALU_DEP_2) | instskip(NEXT) | instid1(VALU_DEP_1)
	v_mul_u32_u24_e32 v4, 0x168, v4
	v_add3_u32 v181, 0, v4, v5
	v_add_f64_e32 v[4:5], v[52:53], v[146:147]
	v_fma_f64 v[34:35], v[2:3], s[2:3], v[34:35]
	s_delay_alu instid0(VALU_DEP_2) | instskip(NEXT) | instid1(VALU_DEP_1)
	v_add_f64_e32 v[4:5], v[4:5], v[72:73]
	v_add_f64_e32 v[4:5], v[4:5], v[130:131]
	s_delay_alu instid0(VALU_DEP_1) | instskip(SKIP_3) | instid1(VALU_DEP_2)
	v_add_f64_e32 v[4:5], v[4:5], v[84:85]
	ds_store_2addr_b64 v181, v[4:5], v[34:35] offset1:9
	v_add_f64_e32 v[4:5], v[146:147], v[84:85]
	v_add_f64_e64 v[34:35], v[72:73], -v[146:147]
	v_fma_f64 v[4:5], v[4:5], -0.5, v[52:53]
	s_delay_alu instid0(VALU_DEP_2) | instskip(NEXT) | instid1(VALU_DEP_2)
	v_add_f64_e32 v[34:35], v[34:35], v[36:37]
	v_fma_f64 v[36:37], v[32:33], s[16:17], v[4:5]
	v_fma_f64 v[4:5], v[32:33], s[14:15], v[4:5]
	s_delay_alu instid0(VALU_DEP_2) | instskip(NEXT) | instid1(VALU_DEP_2)
	v_fma_f64 v[36:37], v[30:31], s[6:7], v[36:37]
	v_fma_f64 v[4:5], v[30:31], s[12:13], v[4:5]
	s_delay_alu instid0(VALU_DEP_2) | instskip(NEXT) | instid1(VALU_DEP_2)
	v_fma_f64 v[36:37], v[34:35], s[2:3], v[36:37]
	v_fma_f64 v[4:5], v[34:35], s[2:3], v[4:5]
	ds_store_2addr_b64 v181, v[36:37], v[4:5] offset0:18 offset1:27
	v_fma_f64 v[4:5], v[30:31], s[16:17], v[28:29]
	v_add_f64_e64 v[28:29], v[82:83], -v[92:93]
	v_add_f64_e64 v[30:31], v[76:77], -v[62:63]
	;; [unrolled: 1-line block ×3, first 2 shown]
	s_delay_alu instid0(VALU_DEP_4) | instskip(SKIP_1) | instid1(VALU_DEP_2)
	v_fma_f64 v[4:5], v[32:33], s[12:13], v[4:5]
	v_add_f64_e64 v[32:33], v[68:69], -v[66:67]
	v_fma_f64 v[2:3], v[2:3], s[2:3], v[4:5]
	v_add_f64_e64 v[4:5], v[86:87], -v[74:75]
	ds_store_b64 v181, v[2:3] offset:288
	v_add_f64_e32 v[4:5], v[4:5], v[28:29]
	v_add_f64_e32 v[28:29], v[74:75], v[92:93]
	v_and_b32_e32 v2, 0xffff, v105
	v_lshlrev_b32_e32 v3, 3, v106
	s_delay_alu instid0(VALU_DEP_2) | instskip(NEXT) | instid1(VALU_DEP_1)
	v_mul_u32_u24_e32 v2, 0x168, v2
	v_add3_u32 v182, 0, v2, v3
	v_add_f64_e32 v[2:3], v[54:55], v[86:87]
	v_fma_f64 v[28:29], v[28:29], -0.5, v[54:55]
	s_delay_alu instid0(VALU_DEP_2) | instskip(NEXT) | instid1(VALU_DEP_2)
	v_add_f64_e32 v[2:3], v[2:3], v[74:75]
	v_fma_f64 v[34:35], v[30:31], s[14:15], v[28:29]
	s_delay_alu instid0(VALU_DEP_2) | instskip(NEXT) | instid1(VALU_DEP_2)
	v_add_f64_e32 v[2:3], v[2:3], v[92:93]
	v_fma_f64 v[34:35], v[32:33], s[6:7], v[34:35]
	;; [unrolled: 3-line block ×3, first 2 shown]
	ds_store_2addr_b64 v182, v[2:3], v[34:35] offset1:9
	v_add_f64_e32 v[2:3], v[86:87], v[82:83]
	v_add_f64_e64 v[34:35], v[74:75], -v[86:87]
	s_delay_alu instid0(VALU_DEP_2) | instskip(NEXT) | instid1(VALU_DEP_2)
	v_fma_f64 v[2:3], v[2:3], -0.5, v[54:55]
	v_add_f64_e32 v[34:35], v[34:35], v[36:37]
	s_delay_alu instid0(VALU_DEP_2) | instskip(SKIP_1) | instid1(VALU_DEP_2)
	v_fma_f64 v[36:37], v[32:33], s[16:17], v[2:3]
	v_fma_f64 v[2:3], v[32:33], s[14:15], v[2:3]
	;; [unrolled: 1-line block ×3, first 2 shown]
	s_delay_alu instid0(VALU_DEP_2) | instskip(NEXT) | instid1(VALU_DEP_2)
	v_fma_f64 v[2:3], v[30:31], s[12:13], v[2:3]
	v_fma_f64 v[36:37], v[34:35], s[2:3], v[36:37]
	s_delay_alu instid0(VALU_DEP_2)
	v_fma_f64 v[2:3], v[34:35], s[2:3], v[2:3]
	ds_store_2addr_b64 v182, v[36:37], v[2:3] offset0:18 offset1:27
	v_fma_f64 v[2:3], v[30:31], s[16:17], v[28:29]
	v_add_f64_e64 v[28:29], v[114:115], -v[94:95]
	v_add_f64_e64 v[30:31], v[78:79], -v[20:21]
	v_add_f64_e64 v[36:37], v[94:95], -v[114:115]
	s_delay_alu instid0(VALU_DEP_4) | instskip(SKIP_1) | instid1(VALU_DEP_2)
	v_fma_f64 v[2:3], v[32:33], s[12:13], v[2:3]
	v_add_f64_e64 v[32:33], v[80:81], -v[70:71]
	v_fma_f64 v[2:3], v[4:5], s[2:3], v[2:3]
	v_add_f64_e64 v[4:5], v[90:91], -v[98:99]
	ds_store_b64 v182, v[2:3] offset:288
	v_add_f64_e32 v[4:5], v[4:5], v[28:29]
	v_add_f64_e32 v[28:29], v[98:99], v[94:95]
	v_and_b32_e32 v2, 0xffff, v107
	v_lshlrev_b32_e32 v3, 3, v112
	s_delay_alu instid0(VALU_DEP_2) | instskip(NEXT) | instid1(VALU_DEP_1)
	v_mul_u32_u24_e32 v2, 0x168, v2
	v_add3_u32 v183, 0, v2, v3
	v_add_f64_e32 v[2:3], v[50:51], v[90:91]
	v_fma_f64 v[28:29], v[28:29], -0.5, v[50:51]
	s_delay_alu instid0(VALU_DEP_2) | instskip(NEXT) | instid1(VALU_DEP_2)
	v_add_f64_e32 v[2:3], v[2:3], v[98:99]
	v_fma_f64 v[34:35], v[30:31], s[14:15], v[28:29]
	s_delay_alu instid0(VALU_DEP_2) | instskip(NEXT) | instid1(VALU_DEP_2)
	v_add_f64_e32 v[2:3], v[2:3], v[94:95]
	v_fma_f64 v[34:35], v[32:33], s[6:7], v[34:35]
	;; [unrolled: 3-line block ×3, first 2 shown]
	ds_store_2addr_b64 v183, v[2:3], v[34:35] offset1:9
	v_add_f64_e32 v[2:3], v[90:91], v[114:115]
	v_add_f64_e64 v[34:35], v[98:99], -v[90:91]
	s_delay_alu instid0(VALU_DEP_2) | instskip(NEXT) | instid1(VALU_DEP_2)
	v_fma_f64 v[2:3], v[2:3], -0.5, v[50:51]
	v_add_f64_e32 v[34:35], v[34:35], v[36:37]
	s_delay_alu instid0(VALU_DEP_2) | instskip(SKIP_1) | instid1(VALU_DEP_2)
	v_fma_f64 v[36:37], v[32:33], s[16:17], v[2:3]
	v_fma_f64 v[2:3], v[32:33], s[14:15], v[2:3]
	;; [unrolled: 1-line block ×3, first 2 shown]
	s_delay_alu instid0(VALU_DEP_2) | instskip(NEXT) | instid1(VALU_DEP_2)
	v_fma_f64 v[2:3], v[30:31], s[12:13], v[2:3]
	v_fma_f64 v[36:37], v[34:35], s[2:3], v[36:37]
	s_delay_alu instid0(VALU_DEP_2)
	v_fma_f64 v[2:3], v[34:35], s[2:3], v[2:3]
	ds_store_2addr_b64 v183, v[36:37], v[2:3] offset0:18 offset1:27
	v_fma_f64 v[2:3], v[30:31], s[16:17], v[28:29]
	v_add_f64_e64 v[28:29], v[118:119], -v[126:127]
	v_add_f64_e64 v[30:31], v[108:109], -v[22:23]
	;; [unrolled: 1-line block ×3, first 2 shown]
	s_delay_alu instid0(VALU_DEP_4) | instskip(SKIP_1) | instid1(VALU_DEP_2)
	v_fma_f64 v[2:3], v[32:33], s[12:13], v[2:3]
	v_add_f64_e64 v[32:33], v[88:89], -v[10:11]
	v_fma_f64 v[2:3], v[4:5], s[2:3], v[2:3]
	v_add_f64_e64 v[4:5], v[120:121], -v[100:101]
	ds_store_b64 v183, v[2:3] offset:288
	v_add_f64_e32 v[4:5], v[4:5], v[28:29]
	v_add_f64_e32 v[28:29], v[100:101], v[126:127]
	v_and_b32_e32 v2, 0xffff, v102
	v_lshlrev_b32_e32 v3, 3, v103
	s_delay_alu instid0(VALU_DEP_2) | instskip(NEXT) | instid1(VALU_DEP_1)
	v_mul_u32_u24_e32 v2, 0x168, v2
	v_add3_u32 v184, 0, v2, v3
	v_add_f64_e32 v[2:3], v[48:49], v[120:121]
	v_fma_f64 v[28:29], v[28:29], -0.5, v[48:49]
	s_delay_alu instid0(VALU_DEP_2) | instskip(NEXT) | instid1(VALU_DEP_2)
	v_add_f64_e32 v[2:3], v[2:3], v[100:101]
	v_fma_f64 v[34:35], v[30:31], s[14:15], v[28:29]
	s_delay_alu instid0(VALU_DEP_2) | instskip(NEXT) | instid1(VALU_DEP_2)
	v_add_f64_e32 v[2:3], v[2:3], v[126:127]
	v_fma_f64 v[34:35], v[32:33], s[6:7], v[34:35]
	;; [unrolled: 3-line block ×3, first 2 shown]
	ds_store_2addr_b64 v184, v[2:3], v[34:35] offset1:9
	v_add_f64_e32 v[2:3], v[120:121], v[118:119]
	v_add_f64_e64 v[34:35], v[100:101], -v[120:121]
	s_delay_alu instid0(VALU_DEP_2) | instskip(NEXT) | instid1(VALU_DEP_2)
	v_fma_f64 v[2:3], v[2:3], -0.5, v[48:49]
	v_add_f64_e32 v[34:35], v[34:35], v[36:37]
	s_delay_alu instid0(VALU_DEP_2) | instskip(SKIP_1) | instid1(VALU_DEP_2)
	v_fma_f64 v[36:37], v[32:33], s[16:17], v[2:3]
	v_fma_f64 v[2:3], v[32:33], s[14:15], v[2:3]
	;; [unrolled: 1-line block ×3, first 2 shown]
	s_delay_alu instid0(VALU_DEP_2) | instskip(NEXT) | instid1(VALU_DEP_2)
	v_fma_f64 v[2:3], v[30:31], s[12:13], v[2:3]
	v_fma_f64 v[36:37], v[34:35], s[2:3], v[36:37]
	s_delay_alu instid0(VALU_DEP_2) | instskip(SKIP_3) | instid1(VALU_DEP_2)
	v_fma_f64 v[2:3], v[34:35], s[2:3], v[2:3]
	ds_store_2addr_b64 v184, v[36:37], v[2:3] offset0:18 offset1:27
	v_fma_f64 v[2:3], v[30:31], s[16:17], v[28:29]
	v_add_f64_e32 v[28:29], v[124:125], v[128:129]
	v_fma_f64 v[2:3], v[32:33], s[12:13], v[2:3]
	s_delay_alu instid0(VALU_DEP_2) | instskip(SKIP_1) | instid1(VALU_DEP_3)
	v_fma_f64 v[28:29], v[28:29], -0.5, v[44:45]
	v_add_f64_e64 v[32:33], v[136:137], -v[128:129]
	v_fma_f64 v[2:3], v[4:5], s[2:3], v[2:3]
	s_delay_alu instid0(VALU_DEP_3)
	v_fma_f64 v[30:31], v[26:27], s[14:15], v[28:29]
	v_fma_f64 v[26:27], v[26:27], s[16:17], v[28:29]
	v_add_f64_e64 v[28:29], v[122:123], -v[124:125]
	ds_store_b64 v184, v[2:3] offset:288
	v_mul_u32_u24_e32 v2, 0x168, v40
	v_lshlrev_b32_e32 v3, 3, v41
	v_add_f64_e32 v[28:29], v[28:29], v[32:33]
	v_fma_f64 v[26:27], v[24:25], s[12:13], v[26:27]
	v_fma_f64 v[24:25], v[24:25], s[6:7], v[30:31]
	s_delay_alu instid0(VALU_DEP_4) | instskip(SKIP_1) | instid1(VALU_DEP_4)
	v_add3_u32 v185, 0, v2, v3
	v_add_f64_e32 v[2:3], v[44:45], v[122:123]
	v_fma_f64 v[4:5], v[28:29], s[2:3], v[26:27]
	s_delay_alu instid0(VALU_DEP_4) | instskip(NEXT) | instid1(VALU_DEP_3)
	v_fma_f64 v[102:103], v[28:29], s[2:3], v[24:25]
	v_add_f64_e32 v[2:3], v[2:3], v[124:125]
	s_delay_alu instid0(VALU_DEP_1) | instskip(NEXT) | instid1(VALU_DEP_1)
	v_add_f64_e32 v[2:3], v[2:3], v[128:129]
	v_add_f64_e32 v[2:3], v[2:3], v[136:137]
	ds_store_2addr_b64 v185, v[2:3], v[102:103] offset1:9
	ds_store_2addr_b64 v185, v[16:17], v[18:19] offset0:18 offset1:27
	ds_store_b64 v185, v[4:5] offset:288
	global_wb scope:SCOPE_SE
	s_wait_dscnt 0x0
	s_barrier_signal -1
	s_barrier_wait -1
	global_inv scope:SCOPE_SE
	ds_load_b64 v[104:105], v167
	ds_load_b64 v[106:107], v166
	ds_load_b64 v[112:113], v164 offset:11808
	ds_load_2addr_b64 v[56:59], v180 offset0:66 offset1:129
	ds_load_2addr_b64 v[40:43], v174 offset0:64 offset1:163
	;; [unrolled: 1-line block ×8, first 2 shown]
	ds_load_2addr_b64 v[24:27], v164 offset1:225
	s_and_saveexec_b32 s1, s0
	s_cbranch_execz .LBB0_29
; %bb.28:
	v_add_nc_u32_e32 v0, 0xc00, v164
	v_add_nc_u32_e32 v1, 0x1b00, v164
	;; [unrolled: 1-line block ×3, first 2 shown]
	ds_load_b64 v[102:103], v168
	ds_load_2addr_b64 v[16:19], v0 offset0:30 offset1:255
	ds_load_2addr_b64 v[4:7], v1 offset1:225
	ds_load_2addr_b64 v[0:3], v2 offset0:2 offset1:227
.LBB0_29:
	s_wait_alu 0xfffe
	s_or_b32 exec_lo, exec_lo, s1
	v_add_f64_e32 v[174:175], v[64:65], v[12:13]
	v_add_f64_e32 v[176:177], v[144:145], v[60:61]
	;; [unrolled: 1-line block ×11, first 2 shown]
	v_add_f64_e64 v[84:85], v[146:147], -v[84:85]
	v_add_f64_e32 v[204:205], v[140:141], v[76:77]
	v_add_f64_e64 v[82:83], v[86:87], -v[82:83]
	v_add_f64_e32 v[86:87], v[150:151], v[78:79]
	v_add_f64_e32 v[206:207], v[148:149], v[108:109]
	;; [unrolled: 1-line block ×3, first 2 shown]
	v_add_f64_e64 v[72:73], v[72:73], -v[130:131]
	v_add_f64_e64 v[74:75], v[74:75], -v[92:93]
	;; [unrolled: 1-line block ×12, first 2 shown]
	global_wb scope:SCOPE_SE
	s_wait_dscnt 0x0
	s_barrier_signal -1
	s_barrier_wait -1
	global_inv scope:SCOPE_SE
	v_fma_f64 v[174:175], v[174:175], -0.5, v[142:143]
	v_fma_f64 v[92:93], v[176:177], -0.5, v[142:143]
	;; [unrolled: 1-line block ×10, first 2 shown]
	v_add_f64_e64 v[142:143], v[76:77], -v[68:69]
	v_add_f64_e64 v[76:77], v[68:69], -v[76:77]
	;; [unrolled: 1-line block ×8, first 2 shown]
	v_add_f64_e32 v[64:65], v[200:201], v[64:65]
	v_add_f64_e32 v[68:69], v[204:205], v[68:69]
	;; [unrolled: 1-line block ×5, first 2 shown]
	v_add_f64_e64 v[140:141], v[62:63], -v[66:67]
	v_add_f64_e64 v[148:149], v[66:67], -v[62:63]
	;; [unrolled: 1-line block ×8, first 2 shown]
	v_add_f64_e32 v[130:131], v[130:131], v[146:147]
	v_add_f64_e32 v[144:145], v[144:145], v[202:203]
	v_fma_f64 v[116:117], v[84:85], s[16:17], v[174:175]
	v_fma_f64 v[174:175], v[84:85], s[14:15], v[174:175]
	;; [unrolled: 1-line block ×20, first 2 shown]
	v_add_f64_e32 v[12:13], v[64:65], v[12:13]
	v_add_f64_e32 v[64:65], v[68:69], v[66:67]
	;; [unrolled: 1-line block ×13, first 2 shown]
	v_fma_f64 v[70:71], v[72:73], s[12:13], v[116:117]
	v_fma_f64 v[72:73], v[72:73], s[6:7], v[174:175]
	;; [unrolled: 1-line block ×20, first 2 shown]
	v_add_f64_e32 v[126:127], v[12:13], v[60:61]
	v_add_f64_e32 v[64:65], v[64:65], v[62:63]
	;; [unrolled: 1-line block ×5, first 2 shown]
	v_add_nc_u32_e32 v10, 0xc00, v164
	v_add_nc_u32_e32 v11, 0x1000, v164
	v_fma_f64 v[68:69], v[130:131], s[2:3], v[70:71]
	v_fma_f64 v[70:71], v[130:131], s[2:3], v[72:73]
	;; [unrolled: 1-line block ×20, first 2 shown]
	v_add_nc_u32_e32 v108, 0x1800, v164
	v_add_nc_u32_e32 v109, 0x2000, v164
	;; [unrolled: 1-line block ×5, first 2 shown]
	ds_store_2addr_b64 v181, v[126:127], v[68:69] offset1:9
	ds_store_2addr_b64 v181, v[72:73], v[80:81] offset0:18 offset1:27
	ds_store_b64 v181, v[70:71] offset:288
	ds_store_2addr_b64 v182, v[64:65], v[84:85] offset1:9
	ds_store_2addr_b64 v182, v[86:87], v[76:77] offset0:18 offset1:27
	ds_store_b64 v182, v[74:75] offset:288
	;; [unrolled: 3-line block ×5, first 2 shown]
	global_wb scope:SCOPE_SE
	s_wait_dscnt 0x0
	s_barrier_signal -1
	s_barrier_wait -1
	global_inv scope:SCOPE_SE
	ds_load_2addr_b64 v[20:23], v164 offset1:225
	ds_load_2addr_b64 v[92:95], v10 offset0:66 offset1:129
	ds_load_2addr_b64 v[76:79], v11 offset0:64 offset1:163
	;; [unrolled: 1-line block ×8, first 2 shown]
	ds_load_b64 v[108:109], v167
	ds_load_b64 v[110:111], v166
	ds_load_b64 v[114:115], v164 offset:11808
	s_and_saveexec_b32 s1, s0
	s_cbranch_execz .LBB0_31
; %bb.30:
	v_add_nc_u32_e32 v8, 0x1b00, v164
	v_add_nc_u32_e32 v9, 0x2900, v164
	ds_load_b64 v[100:101], v168
	ds_load_2addr_b64 v[60:63], v10 offset0:30 offset1:255
	ds_load_2addr_b64 v[12:15], v8 offset1:225
	ds_load_2addr_b64 v[8:11], v9 offset0:2 offset1:227
.LBB0_31:
	s_wait_alu 0xfffe
	s_or_b32 exec_lo, exec_lo, s1
	v_subrev_nc_u32_e32 v96, 45, v153
	v_cmp_gt_u32_e64 s1, 45, v153
	v_mov_b32_e32 v97, 0
	s_mov_b32 s16, 0x37e14327
	s_mov_b32 s18, 0xe976ee23
	;; [unrolled: 1-line block ×3, first 2 shown]
	s_wait_alu 0xf1ff
	v_cndmask_b32_e64 v142, v96, v153, s1
	s_mov_b32 s19, 0x3fe11646
	s_mov_b32 s12, 0x36b3c0b5
	;; [unrolled: 1-line block ×4, first 2 shown]
	v_mul_i32_i24_e32 v96, 6, v142
	s_mov_b32 s13, 0x3fac98ee
	s_mov_b32 s7, 0xbff2aaaa
	;; [unrolled: 1-line block ×4, first 2 shown]
	v_lshlrev_b64_e32 v[96:97], 4, v[96:97]
	s_mov_b32 s3, 0xbfdc38aa
	s_mov_b32 s20, 0x429ad128
	;; [unrolled: 1-line block ×5, first 2 shown]
	v_add_co_u32 v116, s1, s4, v96
	s_wait_alu 0xf1ff
	v_add_co_ci_u32_e64 v117, s1, s5, v97, s1
	v_cmp_lt_u32_e64 s1, 44, v153
	s_wait_alu 0xfffe
	s_mov_b32 s22, s14
	s_clause 0x1
	global_load_b128 v[96:99], v[116:117], off offset:688
	global_load_b128 v[143:146], v[116:117], off offset:672
	s_mov_b32 s25, 0x3fe77f67
	s_mov_b32 s27, 0xbfe77f67
	s_mov_b32 s26, s24
	s_wait_loadcnt_dscnt 0x10a
	v_mul_f64_e32 v[118:119], v[92:93], v[98:99]
	s_delay_alu instid0(VALU_DEP_1) | instskip(SKIP_1) | instid1(VALU_DEP_1)
	v_fma_f64 v[118:119], v[56:57], v[96:97], v[118:119]
	v_mul_f64_e32 v[56:57], v[56:57], v[98:99]
	v_fma_f64 v[130:131], v[92:93], v[96:97], -v[56:57]
	v_mul_lo_u16 v56, 0x6d, v173
	s_delay_alu instid0(VALU_DEP_1) | instskip(NEXT) | instid1(VALU_DEP_1)
	v_lshrrev_b16 v56, 8, v56
	v_sub_nc_u16 v57, v161, v56
	s_delay_alu instid0(VALU_DEP_1) | instskip(NEXT) | instid1(VALU_DEP_1)
	v_lshrrev_b16 v57, 1, v57
	v_and_b32_e32 v57, 0x7f, v57
	s_delay_alu instid0(VALU_DEP_1) | instskip(NEXT) | instid1(VALU_DEP_1)
	v_add_nc_u16 v56, v57, v56
	v_lshrrev_b16 v151, 5, v56
	s_delay_alu instid0(VALU_DEP_1) | instskip(NEXT) | instid1(VALU_DEP_1)
	v_mul_lo_u16 v56, v151, 45
	v_sub_nc_u16 v56, v161, v56
	s_delay_alu instid0(VALU_DEP_1) | instskip(NEXT) | instid1(VALU_DEP_1)
	v_and_b32_e32 v177, 0xff, v56
	v_mul_u32_u24_e32 v56, 6, v177
	s_delay_alu instid0(VALU_DEP_1)
	v_lshlrev_b32_e32 v132, 4, v56
	s_clause 0x1
	global_load_b128 v[96:99], v132, s[4:5] offset:688
	global_load_b128 v[122:125], v132, s[4:5] offset:672
	s_wait_loadcnt 0x1
	v_mul_f64_e32 v[56:57], v[94:95], v[98:99]
	s_delay_alu instid0(VALU_DEP_1) | instskip(SKIP_1) | instid1(VALU_DEP_1)
	v_fma_f64 v[92:93], v[58:59], v[96:97], v[56:57]
	v_mul_f64_e32 v[56:57], v[58:59], v[98:99]
	v_fma_f64 v[120:121], v[94:95], v[96:97], -v[56:57]
	s_clause 0x1
	global_load_b128 v[56:59], v[116:117], off offset:720
	global_load_b128 v[126:129], v[116:117], off offset:704
	s_wait_loadcnt_dscnt 0x108
	v_mul_f64_e32 v[94:95], v[88:89], v[58:59]
	s_delay_alu instid0(VALU_DEP_1) | instskip(SKIP_1) | instid1(VALU_DEP_1)
	v_fma_f64 v[94:95], v[52:53], v[56:57], v[94:95]
	v_mul_f64_e32 v[52:53], v[52:53], v[58:59]
	v_fma_f64 v[96:97], v[88:89], v[56:57], -v[52:53]
	s_clause 0x1
	global_load_b128 v[56:59], v132, s[4:5] offset:720
	global_load_b128 v[147:150], v132, s[4:5] offset:704
	s_wait_loadcnt 0x1
	v_mul_f64_e32 v[52:53], v[90:91], v[58:59]
	s_delay_alu instid0(VALU_DEP_1) | instskip(SKIP_1) | instid1(VALU_DEP_1)
	v_fma_f64 v[88:89], v[54:55], v[56:57], v[52:53]
	v_mul_f64_e32 v[52:53], v[54:55], v[58:59]
	v_fma_f64 v[90:91], v[90:91], v[56:57], -v[52:53]
	s_clause 0x1
	global_load_b128 v[52:55], v[116:117], off offset:752
	global_load_b128 v[56:59], v[116:117], off offset:736
	s_wait_loadcnt_dscnt 0x106
	v_mul_f64_e32 v[98:99], v[84:85], v[54:55]
	s_delay_alu instid0(VALU_DEP_1) | instskip(SKIP_1) | instid1(VALU_DEP_1)
	v_fma_f64 v[98:99], v[48:49], v[52:53], v[98:99]
	v_mul_f64_e32 v[48:49], v[48:49], v[54:55]
	v_fma_f64 v[136:137], v[84:85], v[52:53], -v[48:49]
	s_clause 0x1
	global_load_b128 v[52:55], v132, s[4:5] offset:752
	global_load_b128 v[173:176], v132, s[4:5] offset:736
	s_wait_loadcnt 0x1
	v_mul_f64_e32 v[48:49], v[86:87], v[54:55]
	s_delay_alu instid0(VALU_DEP_1) | instskip(SKIP_1) | instid1(VALU_DEP_1)
	v_fma_f64 v[84:85], v[50:51], v[52:53], v[48:49]
	v_mul_f64_e32 v[48:49], v[50:51], v[54:55]
	v_fma_f64 v[132:133], v[86:87], v[52:53], -v[48:49]
	s_wait_dscnt 0x5
	v_mul_f64_e32 v[48:49], v[80:81], v[124:125]
	s_delay_alu instid0(VALU_DEP_1) | instskip(SKIP_1) | instid1(VALU_DEP_1)
	v_fma_f64 v[86:87], v[44:45], v[122:123], v[48:49]
	v_mul_f64_e32 v[44:45], v[44:45], v[124:125]
	v_fma_f64 v[134:135], v[80:81], v[122:123], -v[44:45]
	v_mul_lo_u16 v44, 0x6d, v172
	s_delay_alu instid0(VALU_DEP_1) | instskip(NEXT) | instid1(VALU_DEP_1)
	v_lshrrev_b16 v44, 8, v44
	v_sub_nc_u16 v45, v162, v44
	s_delay_alu instid0(VALU_DEP_1) | instskip(NEXT) | instid1(VALU_DEP_1)
	v_lshrrev_b16 v45, 1, v45
	v_and_b32_e32 v45, 0x7f, v45
	s_delay_alu instid0(VALU_DEP_1) | instskip(NEXT) | instid1(VALU_DEP_1)
	v_add_nc_u16 v44, v45, v44
	v_lshrrev_b16 v172, 5, v44
	s_delay_alu instid0(VALU_DEP_1) | instskip(NEXT) | instid1(VALU_DEP_1)
	v_mul_lo_u16 v44, v172, 45
	v_sub_nc_u16 v44, v162, v44
	s_delay_alu instid0(VALU_DEP_1) | instskip(NEXT) | instid1(VALU_DEP_1)
	v_and_b32_e32 v178, 0xff, v44
	v_mul_u32_u24_e32 v44, 6, v178
	s_delay_alu instid0(VALU_DEP_1)
	v_lshlrev_b32_e32 v179, 4, v44
	s_clause 0x1
	global_load_b128 v[48:51], v179, s[4:5] offset:672
	global_load_b128 v[52:55], v179, s[4:5] offset:688
	s_wait_loadcnt 0x1
	v_mul_f64_e32 v[44:45], v[82:83], v[50:51]
	s_delay_alu instid0(VALU_DEP_1) | instskip(SKIP_1) | instid1(VALU_DEP_1)
	v_fma_f64 v[80:81], v[46:47], v[48:49], v[44:45]
	v_mul_f64_e32 v[44:45], v[46:47], v[50:51]
	v_fma_f64 v[116:117], v[82:83], v[48:49], -v[44:45]
	v_mul_f64_e32 v[44:45], v[78:79], v[128:129]
	s_delay_alu instid0(VALU_DEP_1) | instskip(SKIP_1) | instid1(VALU_DEP_1)
	v_fma_f64 v[82:83], v[42:43], v[126:127], v[44:45]
	v_mul_f64_e32 v[42:43], v[42:43], v[128:129]
	v_fma_f64 v[122:123], v[78:79], v[126:127], -v[42:43]
	s_wait_loadcnt 0x0
	v_mul_f64_e32 v[42:43], v[76:77], v[54:55]
	s_delay_alu instid0(VALU_DEP_1) | instskip(SKIP_1) | instid1(VALU_DEP_1)
	v_fma_f64 v[78:79], v[40:41], v[52:53], v[42:43]
	v_mul_f64_e32 v[40:41], v[40:41], v[54:55]
	v_fma_f64 v[126:127], v[76:77], v[52:53], -v[40:41]
	s_wait_dscnt 0x4
	v_mul_f64_e32 v[40:41], v[72:73], v[149:150]
	s_delay_alu instid0(VALU_DEP_1) | instskip(SKIP_4) | instid1(VALU_DEP_1)
	v_fma_f64 v[76:77], v[36:37], v[147:148], v[40:41]
	s_clause 0x1
	global_load_b128 v[40:43], v179, s[4:5] offset:704
	global_load_b128 v[44:47], v179, s[4:5] offset:720
	v_mul_f64_e32 v[36:37], v[36:37], v[149:150]
	v_fma_f64 v[124:125], v[72:73], v[147:148], -v[36:37]
	s_wait_loadcnt 0x1
	v_mul_f64_e32 v[36:37], v[74:75], v[42:43]
	s_delay_alu instid0(VALU_DEP_1) | instskip(SKIP_1) | instid1(VALU_DEP_1)
	v_fma_f64 v[72:73], v[38:39], v[40:41], v[36:37]
	v_mul_f64_e32 v[36:37], v[38:39], v[42:43]
	v_fma_f64 v[74:75], v[74:75], v[40:41], -v[36:37]
	s_wait_dscnt 0x3
	v_mul_f64_e32 v[36:37], v[68:69], v[175:176]
	s_delay_alu instid0(VALU_DEP_1) | instskip(SKIP_4) | instid1(VALU_DEP_1)
	v_fma_f64 v[128:129], v[32:33], v[173:174], v[36:37]
	s_clause 0x1
	global_load_b128 v[36:39], v179, s[4:5] offset:736
	global_load_b128 v[147:150], v179, s[4:5] offset:752
	v_mul_f64_e32 v[32:33], v[32:33], v[175:176]
	v_fma_f64 v[140:141], v[68:69], v[173:174], -v[32:33]
	s_wait_loadcnt 0x1
	v_mul_f64_e32 v[32:33], v[70:71], v[38:39]
	s_delay_alu instid0(VALU_DEP_1) | instskip(SKIP_1) | instid1(VALU_DEP_1)
	v_fma_f64 v[32:33], v[34:35], v[36:37], v[32:33]
	v_mul_f64_e32 v[34:35], v[34:35], v[38:39]
	v_fma_f64 v[68:69], v[70:71], v[36:37], -v[34:35]
	v_mul_f64_e32 v[34:35], v[66:67], v[58:59]
	v_mul_lo_u16 v36, 0x6d, v171
	s_delay_alu instid0(VALU_DEP_1) | instskip(NEXT) | instid1(VALU_DEP_1)
	v_lshrrev_b16 v36, 8, v36
	v_sub_nc_u16 v37, v163, v36
	s_delay_alu instid0(VALU_DEP_1) | instskip(NEXT) | instid1(VALU_DEP_1)
	v_lshrrev_b16 v37, 1, v37
	v_and_b32_e32 v37, 0x7f, v37
	s_delay_alu instid0(VALU_DEP_1) | instskip(NEXT) | instid1(VALU_DEP_1)
	v_add_nc_u16 v36, v37, v36
	v_lshrrev_b16 v36, 5, v36
	s_delay_alu instid0(VALU_DEP_1) | instskip(SKIP_2) | instid1(VALU_DEP_3)
	v_mul_lo_u16 v36, v36, 45
	v_fma_f64 v[34:35], v[30:31], v[56:57], v[34:35]
	v_mul_f64_e32 v[30:31], v[30:31], v[58:59]
	v_sub_nc_u16 v36, v163, v36
	s_delay_alu instid0(VALU_DEP_1) | instskip(NEXT) | instid1(VALU_DEP_1)
	v_and_b32_e32 v171, 0xff, v36
	v_mul_u32_u24_e32 v36, 6, v171
	s_delay_alu instid0(VALU_DEP_1) | instskip(SKIP_2) | instid1(VALU_DEP_1)
	v_lshlrev_b32_e32 v54, 4, v36
	v_fma_f64 v[66:67], v[66:67], v[56:57], -v[30:31]
	v_mul_f64_e32 v[30:31], v[64:65], v[46:47]
	v_fma_f64 v[30:31], v[28:29], v[44:45], v[30:31]
	v_mul_f64_e32 v[28:29], v[28:29], v[46:47]
	s_delay_alu instid0(VALU_DEP_1)
	v_fma_f64 v[28:29], v[64:65], v[44:45], -v[28:29]
	s_clause 0x1
	global_load_b128 v[38:41], v54, s[4:5] offset:672
	global_load_b128 v[42:45], v54, s[4:5] offset:688
	s_wait_loadcnt_dscnt 0x102
	v_mul_f64_e32 v[36:37], v[60:61], v[40:41]
	s_delay_alu instid0(VALU_DEP_1) | instskip(SKIP_1) | instid1(VALU_DEP_1)
	v_fma_f64 v[36:37], v[16:17], v[38:39], v[36:37]
	v_mul_f64_e32 v[16:17], v[16:17], v[40:41]
	v_fma_f64 v[40:41], v[60:61], v[38:39], -v[16:17]
	s_wait_loadcnt 0x0
	v_mul_f64_e32 v[16:17], v[62:63], v[44:45]
	s_delay_alu instid0(VALU_DEP_1) | instskip(SKIP_1) | instid1(VALU_DEP_1)
	v_fma_f64 v[38:39], v[18:19], v[42:43], v[16:17]
	v_mul_f64_e32 v[16:17], v[18:19], v[44:45]
	v_fma_f64 v[42:43], v[62:63], v[42:43], -v[16:17]
	s_clause 0x1
	global_load_b128 v[16:19], v54, s[4:5] offset:704
	global_load_b128 v[50:53], v54, s[4:5] offset:720
	s_wait_loadcnt_dscnt 0x101
	v_mul_f64_e32 v[44:45], v[12:13], v[18:19]
	s_delay_alu instid0(VALU_DEP_1) | instskip(SKIP_3) | instid1(VALU_DEP_1)
	v_fma_f64 v[44:45], v[4:5], v[16:17], v[44:45]
	v_mul_f64_e32 v[4:5], v[4:5], v[18:19]
	v_lshlrev_b32_e32 v18, 3, v142
	v_cndmask_b32_e64 v19, 0, 0x9d8, s1
	v_add3_u32 v60, 0, v19, v18
	v_add_f64_e64 v[18:19], v[130:131], -v[66:67]
	v_fma_f64 v[46:47], v[12:13], v[16:17], -v[4:5]
	s_wait_loadcnt 0x0
	v_mul_f64_e32 v[4:5], v[14:15], v[52:53]
	s_delay_alu instid0(VALU_DEP_1) | instskip(SKIP_1) | instid1(VALU_DEP_1)
	v_fma_f64 v[48:49], v[6:7], v[50:51], v[4:5]
	v_mul_f64_e32 v[4:5], v[6:7], v[52:53]
	v_fma_f64 v[50:51], v[14:15], v[50:51], -v[4:5]
	s_clause 0x1
	global_load_b128 v[4:7], v54, s[4:5] offset:736
	global_load_b128 v[12:15], v54, s[4:5] offset:752
	global_wb scope:SCOPE_SE
	s_wait_loadcnt_dscnt 0x0
	s_barrier_signal -1
	s_barrier_wait -1
	global_inv scope:SCOPE_SE
	v_mul_f64_e32 v[16:17], v[8:9], v[6:7]
	s_delay_alu instid0(VALU_DEP_1) | instskip(SKIP_2) | instid1(VALU_DEP_2)
	v_fma_f64 v[52:53], v[0:1], v[4:5], v[16:17]
	v_mul_f64_e32 v[0:1], v[0:1], v[6:7]
	v_mul_f64_e32 v[6:7], v[26:27], v[145:146]
	v_fma_f64 v[56:57], v[8:9], v[4:5], -v[0:1]
	v_mul_f64_e32 v[0:1], v[10:11], v[14:15]
	s_delay_alu instid0(VALU_DEP_3) | instskip(NEXT) | instid1(VALU_DEP_2)
	v_fma_f64 v[6:7], v[22:23], v[143:144], -v[6:7]
	v_fma_f64 v[54:55], v[2:3], v[12:13], v[0:1]
	v_mul_f64_e32 v[0:1], v[2:3], v[14:15]
	v_mul_f64_e32 v[2:3], v[112:113], v[149:150]
	s_delay_alu instid0(VALU_DEP_2) | instskip(NEXT) | instid1(VALU_DEP_2)
	v_fma_f64 v[58:59], v[10:11], v[12:13], -v[0:1]
	v_fma_f64 v[4:5], v[114:115], v[147:148], -v[2:3]
	v_mul_f64_e32 v[2:3], v[22:23], v[145:146]
	v_add_f64_e32 v[10:11], v[118:119], v[34:35]
	v_add_f64_e32 v[12:13], v[82:83], v[94:95]
	v_add_f64_e64 v[22:23], v[96:97], -v[122:123]
	v_mul_f64_e32 v[0:1], v[114:115], v[149:150]
	v_fma_f64 v[2:3], v[26:27], v[143:144], v[2:3]
	s_delay_alu instid0(VALU_DEP_3) | instskip(SKIP_1) | instid1(VALU_DEP_4)
	v_add_f64_e64 v[26:27], v[22:23], -v[18:19]
	v_add_f64_e32 v[61:62], v[22:23], v[18:19]
	v_fma_f64 v[0:1], v[112:113], v[147:148], v[0:1]
	s_delay_alu instid0(VALU_DEP_4) | instskip(NEXT) | instid1(VALU_DEP_4)
	v_add_f64_e32 v[8:9], v[2:3], v[98:99]
	v_mul_f64_e32 v[26:27], s[18:19], v[26:27]
	s_delay_alu instid0(VALU_DEP_2) | instskip(SKIP_2) | instid1(VALU_DEP_3)
	v_add_f64_e32 v[14:15], v[10:11], v[8:9]
	v_add_f64_e64 v[63:64], v[8:9], -v[12:13]
	v_add_f64_e64 v[8:9], v[10:11], -v[8:9]
	v_add_f64_e32 v[14:15], v[12:13], v[14:15]
	v_add_f64_e64 v[12:13], v[12:13], -v[10:11]
	s_delay_alu instid0(VALU_DEP_4) | instskip(NEXT) | instid1(VALU_DEP_3)
	v_mul_f64_e32 v[63:64], s[16:17], v[63:64]
	v_add_f64_e32 v[16:17], v[24:25], v[14:15]
	v_add_f64_e64 v[24:25], v[6:7], -v[136:137]
	s_delay_alu instid0(VALU_DEP_3) | instskip(SKIP_1) | instid1(VALU_DEP_4)
	v_fma_f64 v[112:113], v[12:13], s[12:13], v[63:64]
	v_mul_f64_e32 v[12:13], s[12:13], v[12:13]
	v_fma_f64 v[14:15], v[14:15], s[6:7], v[16:17]
	s_delay_alu instid0(VALU_DEP_4) | instskip(SKIP_1) | instid1(VALU_DEP_3)
	v_add_f64_e64 v[22:23], v[24:25], -v[22:23]
	v_add_f64_e32 v[61:62], v[61:62], v[24:25]
	v_add_f64_e32 v[112:113], v[112:113], v[14:15]
	s_delay_alu instid0(VALU_DEP_3) | instskip(NEXT) | instid1(VALU_DEP_1)
	v_fma_f64 v[70:71], v[22:23], s[14:15], v[26:27]
	v_fma_f64 v[70:71], v[61:62], s[2:3], v[70:71]
	s_delay_alu instid0(VALU_DEP_1)
	v_add_f64_e32 v[114:115], v[70:71], v[112:113]
	ds_store_2addr_b64 v60, v[16:17], v[114:115] offset1:45
	v_add_f64_e64 v[16:17], v[18:19], -v[24:25]
	s_wait_alu 0xfffe
	v_fma_f64 v[18:19], v[8:9], s[26:27], -v[63:64]
	v_fma_f64 v[8:9], v[8:9], s[24:25], -v[12:13]
	s_delay_alu instid0(VALU_DEP_3) | instskip(SKIP_1) | instid1(VALU_DEP_3)
	v_fma_f64 v[10:11], v[16:17], s[20:21], -v[26:27]
	v_mul_f64_e32 v[16:17], s[20:21], v[16:17]
	v_add_f64_e32 v[8:9], v[8:9], v[14:15]
	s_delay_alu instid0(VALU_DEP_3) | instskip(NEXT) | instid1(VALU_DEP_3)
	v_fma_f64 v[10:11], v[61:62], s[2:3], v[10:11]
	v_fma_f64 v[16:17], v[22:23], s[22:23], -v[16:17]
	v_add_f64_e64 v[22:23], v[134:135], -v[132:133]
	s_delay_alu instid0(VALU_DEP_2) | instskip(SKIP_4) | instid1(VALU_DEP_4)
	v_fma_f64 v[12:13], v[61:62], s[2:3], v[16:17]
	v_add_f64_e32 v[16:17], v[18:19], v[14:15]
	v_add_f64_e64 v[18:19], v[8:9], -v[10:11]
	v_add_f64_e32 v[8:9], v[10:11], v[8:9]
	v_lshl_add_u32 v61, v171, 3, 0
	v_add_f64_e64 v[10:11], v[16:17], -v[12:13]
	v_add_f64_e32 v[14:15], v[12:13], v[16:17]
	v_add_f64_e32 v[12:13], v[76:77], v[88:89]
	v_add_f64_e64 v[16:17], v[120:121], -v[140:141]
	ds_store_2addr_b64 v60, v[8:9], v[10:11] offset0:180 offset1:225
	v_add_f64_e64 v[8:9], v[112:113], -v[70:71]
	ds_store_2addr_b64 v60, v[14:15], v[18:19] offset0:90 offset1:135
	v_add_f64_e32 v[10:11], v[92:93], v[128:129]
	v_add_f64_e64 v[18:19], v[90:91], -v[124:125]
	ds_store_b64 v60, v[8:9] offset:2160
	v_and_b32_e32 v8, 0xffff, v151
	v_lshlrev_b32_e32 v9, 3, v177
	v_add_f64_e64 v[24:25], v[18:19], -v[16:17]
	v_add_f64_e32 v[26:27], v[18:19], v[16:17]
	v_add_f64_e64 v[16:17], v[16:17], -v[22:23]
	v_mul_u32_u24_e32 v8, 0x9d8, v8
	v_add_f64_e64 v[18:19], v[22:23], -v[18:19]
	s_delay_alu instid0(VALU_DEP_2) | instskip(SKIP_4) | instid1(VALU_DEP_4)
	v_add3_u32 v62, 0, v8, v9
	v_add_f64_e32 v[8:9], v[86:87], v[84:85]
	v_mul_f64_e32 v[24:25], s[18:19], v[24:25]
	v_add_f64_e32 v[26:27], v[26:27], v[22:23]
	v_add_f64_e64 v[22:23], v[116:117], -v[4:5]
	v_add_f64_e32 v[14:15], v[10:11], v[8:9]
	v_add_f64_e64 v[70:71], v[8:9], -v[12:13]
	v_add_f64_e64 v[8:9], v[10:11], -v[8:9]
	s_delay_alu instid0(VALU_DEP_3) | instskip(SKIP_1) | instid1(VALU_DEP_4)
	v_add_f64_e32 v[14:15], v[12:13], v[14:15]
	v_add_f64_e64 v[12:13], v[12:13], -v[10:11]
	v_mul_f64_e32 v[70:71], s[16:17], v[70:71]
	v_fma_f64 v[10:11], v[16:17], s[20:21], -v[24:25]
	v_mul_f64_e32 v[16:17], s[20:21], v[16:17]
	v_add_f64_e32 v[63:64], v[106:107], v[14:15]
	v_fma_f64 v[106:107], v[18:19], s[14:15], v[24:25]
	v_fma_f64 v[112:113], v[12:13], s[12:13], v[70:71]
	v_mul_f64_e32 v[12:13], s[12:13], v[12:13]
	v_fma_f64 v[16:17], v[18:19], s[22:23], -v[16:17]
	v_fma_f64 v[18:19], v[8:9], s[26:27], -v[70:71]
	v_fma_f64 v[10:11], v[26:27], s[2:3], v[10:11]
	v_fma_f64 v[14:15], v[14:15], s[6:7], v[63:64]
	;; [unrolled: 1-line block ×3, first 2 shown]
	v_fma_f64 v[8:9], v[8:9], s[24:25], -v[12:13]
	v_fma_f64 v[12:13], v[26:27], s[2:3], v[16:17]
	s_delay_alu instid0(VALU_DEP_4) | instskip(SKIP_1) | instid1(VALU_DEP_4)
	v_add_f64_e32 v[16:17], v[18:19], v[14:15]
	v_add_f64_e32 v[112:113], v[112:113], v[14:15]
	;; [unrolled: 1-line block ×3, first 2 shown]
	s_delay_alu instid0(VALU_DEP_3) | instskip(NEXT) | instid1(VALU_DEP_3)
	v_add_f64_e32 v[14:15], v[12:13], v[16:17]
	v_add_f64_e32 v[114:115], v[106:107], v[112:113]
	s_delay_alu instid0(VALU_DEP_3)
	v_add_f64_e64 v[18:19], v[8:9], -v[10:11]
	v_add_f64_e32 v[8:9], v[10:11], v[8:9]
	v_add_f64_e64 v[10:11], v[16:17], -v[12:13]
	v_add_f64_e32 v[12:13], v[72:73], v[30:31]
	v_add_f64_e64 v[16:17], v[126:127], -v[68:69]
	ds_store_2addr_b64 v62, v[63:64], v[114:115] offset1:45
	ds_store_2addr_b64 v62, v[14:15], v[18:19] offset0:90 offset1:135
	v_add_f64_e64 v[18:19], v[28:29], -v[74:75]
	ds_store_2addr_b64 v62, v[8:9], v[10:11] offset0:180 offset1:225
	v_add_f64_e64 v[8:9], v[112:113], -v[106:107]
	v_add_f64_e32 v[10:11], v[78:79], v[32:33]
	v_add_f64_e64 v[24:25], v[18:19], -v[16:17]
	v_add_f64_e32 v[26:27], v[18:19], v[16:17]
	ds_store_b64 v62, v[8:9] offset:2160
	v_and_b32_e32 v8, 0xffff, v172
	v_lshlrev_b32_e32 v9, 3, v178
	v_add_f64_e64 v[16:17], v[16:17], -v[22:23]
	v_add_f64_e64 v[18:19], v[22:23], -v[18:19]
	s_delay_alu instid0(VALU_DEP_4) | instskip(NEXT) | instid1(VALU_DEP_1)
	v_mul_u32_u24_e32 v8, 0x9d8, v8
	v_add3_u32 v63, 0, v8, v9
	v_add_f64_e32 v[8:9], v[80:81], v[0:1]
	v_mul_f64_e32 v[24:25], s[18:19], v[24:25]
	v_add_f64_e32 v[26:27], v[26:27], v[22:23]
	s_delay_alu instid0(VALU_DEP_3) | instskip(SKIP_2) | instid1(VALU_DEP_3)
	v_add_f64_e32 v[14:15], v[10:11], v[8:9]
	v_add_f64_e64 v[70:71], v[8:9], -v[12:13]
	v_add_f64_e64 v[8:9], v[10:11], -v[8:9]
	v_add_f64_e32 v[14:15], v[12:13], v[14:15]
	v_add_f64_e64 v[12:13], v[12:13], -v[10:11]
	s_delay_alu instid0(VALU_DEP_4)
	v_mul_f64_e32 v[70:71], s[16:17], v[70:71]
	v_fma_f64 v[10:11], v[16:17], s[20:21], -v[24:25]
	v_mul_f64_e32 v[16:17], s[20:21], v[16:17]
	v_add_f64_e32 v[64:65], v[104:105], v[14:15]
	v_fma_f64 v[104:105], v[18:19], s[14:15], v[24:25]
	v_fma_f64 v[106:107], v[12:13], s[12:13], v[70:71]
	v_mul_f64_e32 v[12:13], s[12:13], v[12:13]
	v_fma_f64 v[16:17], v[18:19], s[22:23], -v[16:17]
	v_fma_f64 v[18:19], v[8:9], s[26:27], -v[70:71]
	v_fma_f64 v[10:11], v[26:27], s[2:3], v[10:11]
	v_fma_f64 v[14:15], v[14:15], s[6:7], v[64:65]
	;; [unrolled: 1-line block ×3, first 2 shown]
	v_fma_f64 v[8:9], v[8:9], s[24:25], -v[12:13]
	v_fma_f64 v[12:13], v[26:27], s[2:3], v[16:17]
	s_delay_alu instid0(VALU_DEP_4) | instskip(SKIP_1) | instid1(VALU_DEP_4)
	v_add_f64_e32 v[16:17], v[18:19], v[14:15]
	v_add_f64_e32 v[106:107], v[106:107], v[14:15]
	;; [unrolled: 1-line block ×3, first 2 shown]
	s_delay_alu instid0(VALU_DEP_3) | instskip(NEXT) | instid1(VALU_DEP_3)
	v_add_f64_e32 v[14:15], v[12:13], v[16:17]
	v_add_f64_e32 v[112:113], v[104:105], v[106:107]
	s_delay_alu instid0(VALU_DEP_3)
	v_add_f64_e64 v[18:19], v[8:9], -v[10:11]
	v_add_f64_e32 v[8:9], v[10:11], v[8:9]
	v_add_f64_e64 v[10:11], v[16:17], -v[12:13]
	ds_store_2addr_b64 v63, v[64:65], v[112:113] offset1:45
	ds_store_2addr_b64 v63, v[14:15], v[18:19] offset0:90 offset1:135
	ds_store_2addr_b64 v63, v[8:9], v[10:11] offset0:180 offset1:225
	v_add_f64_e64 v[8:9], v[106:107], -v[104:105]
	ds_store_b64 v63, v[8:9] offset:2160
	s_and_saveexec_b32 s1, s0
	s_cbranch_execz .LBB0_33
; %bb.32:
	v_add_f64_e32 v[8:9], v[38:39], v[52:53]
	v_add_f64_e32 v[10:11], v[36:37], v[54:55]
	v_add_f64_e64 v[12:13], v[50:51], -v[46:47]
	v_add_f64_e64 v[14:15], v[42:43], -v[56:57]
	v_add_f64_e32 v[16:17], v[44:45], v[48:49]
	v_add_f64_e64 v[18:19], v[40:41], -v[58:59]
	v_add_f64_e32 v[22:23], v[8:9], v[10:11]
	s_delay_alu instid0(VALU_DEP_4) | instskip(NEXT) | instid1(VALU_DEP_4)
	v_add_f64_e64 v[24:25], v[12:13], -v[14:15]
	v_add_f64_e64 v[26:27], v[10:11], -v[16:17]
	s_delay_alu instid0(VALU_DEP_4)
	v_add_f64_e64 v[64:65], v[14:15], -v[18:19]
	v_add_f64_e32 v[14:15], v[12:13], v[14:15]
	v_add_f64_e64 v[12:13], v[18:19], -v[12:13]
	v_add_f64_e32 v[22:23], v[16:17], v[22:23]
	v_add_f64_e64 v[16:17], v[16:17], -v[8:9]
	v_add_f64_e64 v[8:9], v[8:9], -v[10:11]
	v_mul_f64_e32 v[10:11], s[18:19], v[24:25]
	v_mul_f64_e32 v[24:25], s[16:17], v[26:27]
	;; [unrolled: 1-line block ×3, first 2 shown]
	v_add_f64_e32 v[14:15], v[14:15], v[18:19]
	v_add_f64_e32 v[70:71], v[102:103], v[22:23]
	v_mul_f64_e32 v[102:103], s[12:13], v[16:17]
	v_fma_f64 v[18:19], v[12:13], s[14:15], v[10:11]
	v_fma_f64 v[16:17], v[16:17], s[12:13], v[24:25]
	v_fma_f64 v[104:105], v[8:9], s[26:27], -v[24:25]
	v_fma_f64 v[12:13], v[12:13], s[22:23], -v[26:27]
	;; [unrolled: 1-line block ×3, first 2 shown]
	v_fma_f64 v[22:23], v[22:23], s[6:7], v[70:71]
	v_fma_f64 v[8:9], v[8:9], s[24:25], -v[102:103]
	v_fma_f64 v[18:19], v[14:15], s[2:3], v[18:19]
	v_fma_f64 v[12:13], v[14:15], s[2:3], v[12:13]
	;; [unrolled: 1-line block ×3, first 2 shown]
	v_add_f64_e32 v[16:17], v[16:17], v[22:23]
	v_add_f64_e32 v[14:15], v[104:105], v[22:23]
	;; [unrolled: 1-line block ×3, first 2 shown]
	s_delay_alu instid0(VALU_DEP_3) | instskip(NEXT) | instid1(VALU_DEP_3)
	v_add_f64_e32 v[26:27], v[18:19], v[16:17]
	v_add_f64_e64 v[22:23], v[14:15], -v[12:13]
	s_delay_alu instid0(VALU_DEP_3)
	v_add_f64_e64 v[24:25], v[8:9], -v[10:11]
	v_add_f64_e32 v[12:13], v[12:13], v[14:15]
	v_add_f64_e32 v[8:9], v[10:11], v[8:9]
	v_add_f64_e64 v[10:11], v[16:17], -v[18:19]
	v_add_nc_u32_e32 v14, 0x2400, v61
	v_add_nc_u32_e32 v15, 0x2800, v61
	ds_store_2addr_b64 v14, v[70:71], v[26:27] offset0:108 offset1:153
	ds_store_2addr_b64 v15, v[12:13], v[24:25] offset0:70 offset1:115
	;; [unrolled: 1-line block ×3, first 2 shown]
	ds_store_b64 v61, v[10:11] offset:12240
.LBB0_33:
	s_wait_alu 0xfffe
	s_or_b32 exec_lo, exec_lo, s1
	v_add_f64_e32 v[6:7], v[6:7], v[136:137]
	v_add_f64_e32 v[8:9], v[130:131], v[66:67]
	;; [unrolled: 1-line block ×7, first 2 shown]
	v_add_f64_e64 v[18:19], v[118:119], -v[34:35]
	v_add_f64_e64 v[22:23], v[94:95], -v[82:83]
	;; [unrolled: 1-line block ×3, first 2 shown]
	v_add_f64_e32 v[26:27], v[124:125], v[90:91]
	v_add_f64_e64 v[34:35], v[92:93], -v[128:129]
	v_add_f64_e64 v[64:65], v[88:89], -v[76:77]
	;; [unrolled: 1-line block ×4, first 2 shown]
	v_add_f64_e32 v[28:29], v[74:75], v[28:29]
	v_add_f64_e64 v[30:31], v[30:31], -v[72:73]
	v_add_f64_e64 v[0:1], v[80:81], -v[0:1]
	global_wb scope:SCOPE_SE
	s_wait_dscnt 0x0
	s_barrier_signal -1
	s_barrier_wait -1
	global_inv scope:SCOPE_SE
	ds_load_b64 v[116:117], v164
	ds_load_b64 v[120:121], v167
	;; [unrolled: 1-line block ×3, first 2 shown]
	v_add_nc_u32_e32 v112, 0x1c00, v164
	v_add_f64_e32 v[24:25], v[8:9], v[6:7]
	v_add_f64_e32 v[68:69], v[12:13], v[10:11]
	;; [unrolled: 1-line block ×3, first 2 shown]
	v_add_f64_e64 v[72:73], v[6:7], -v[16:17]
	v_add_f64_e64 v[74:75], v[16:17], -v[8:9]
	;; [unrolled: 1-line block ×8, first 2 shown]
	v_add_f64_e32 v[8:9], v[22:23], v[18:19]
	v_add_f64_e64 v[18:19], v[2:3], -v[22:23]
	v_add_f64_e64 v[86:87], v[30:31], -v[32:33]
	;; [unrolled: 1-line block ×3, first 2 shown]
	v_add_f64_e32 v[22:23], v[64:65], v[34:35]
	v_add_f64_e32 v[32:33], v[30:31], v[32:33]
	v_add_f64_e64 v[64:65], v[66:67], -v[64:65]
	v_add_f64_e64 v[30:31], v[0:1], -v[30:31]
	v_add_f64_e32 v[16:17], v[16:17], v[24:25]
	v_add_f64_e64 v[24:25], v[10:11], -v[26:27]
	v_add_f64_e32 v[26:27], v[26:27], v[68:69]
	;; [unrolled: 2-line block ×3, first 2 shown]
	v_add_f64_e64 v[28:29], v[28:29], -v[14:15]
	v_mul_f64_e32 v[34:35], s[16:17], v[72:73]
	v_mul_f64_e32 v[72:73], s[12:13], v[74:75]
	v_add_f64_e64 v[10:11], v[12:13], -v[10:11]
	v_mul_f64_e32 v[12:13], s[18:19], v[76:77]
	v_mul_f64_e32 v[76:77], s[20:21], v[78:79]
	;; [unrolled: 1-line block ×4, first 2 shown]
	v_add_f64_e64 v[4:5], v[14:15], -v[4:5]
	v_add_f64_e32 v[2:3], v[8:9], v[2:3]
	v_mul_f64_e32 v[86:87], s[18:19], v[86:87]
	v_mul_f64_e32 v[96:97], s[20:21], v[88:89]
	v_add_f64_e32 v[8:9], v[22:23], v[66:67]
	v_add_f64_e32 v[0:1], v[32:33], v[0:1]
	;; [unrolled: 1-line block ×3, first 2 shown]
	v_mul_f64_e32 v[20:21], s[16:17], v[24:25]
	v_add_f64_e32 v[94:95], v[110:111], v[26:27]
	v_mul_f64_e32 v[24:25], s[12:13], v[80:81]
	v_mul_f64_e32 v[68:69], s[16:17], v[68:69]
	v_add_f64_e32 v[98:99], v[108:109], v[70:71]
	v_mul_f64_e32 v[14:15], s[12:13], v[28:29]
	v_fma_f64 v[22:23], v[74:75], s[12:13], v[34:35]
	v_fma_f64 v[32:33], v[6:7], s[24:25], -v[72:73]
	v_fma_f64 v[6:7], v[6:7], s[26:27], -v[34:35]
	v_fma_f64 v[34:35], v[18:19], s[14:15], v[12:13]
	v_fma_f64 v[12:13], v[78:79], s[20:21], -v[12:13]
	v_fma_f64 v[18:19], v[18:19], s[22:23], -v[76:77]
	;; [unrolled: 3-line block ×3, first 2 shown]
	v_fma_f64 v[76:77], v[88:89], s[20:21], -v[86:87]
	v_add_nc_u32_e32 v108, 0x1000, v164
	v_add_nc_u32_e32 v109, 0x1800, v164
	;; [unrolled: 1-line block ×4, first 2 shown]
	v_fma_f64 v[16:17], v[16:17], s[6:7], v[90:91]
	v_fma_f64 v[66:67], v[80:81], s[12:13], v[20:21]
	;; [unrolled: 1-line block ×3, first 2 shown]
	v_fma_f64 v[24:25], v[10:11], s[24:25], -v[24:25]
	v_fma_f64 v[10:11], v[10:11], s[26:27], -v[20:21]
	v_fma_f64 v[20:21], v[28:29], s[12:13], v[68:69]
	v_fma_f64 v[28:29], v[30:31], s[14:15], v[86:87]
	;; [unrolled: 1-line block ×3, first 2 shown]
	v_fma_f64 v[68:69], v[4:5], s[26:27], -v[68:69]
	v_fma_f64 v[4:5], v[4:5], s[24:25], -v[14:15]
	;; [unrolled: 1-line block ×3, first 2 shown]
	v_fma_f64 v[14:15], v[2:3], s[2:3], v[34:35]
	v_fma_f64 v[12:13], v[2:3], s[2:3], v[12:13]
	;; [unrolled: 1-line block ×3, first 2 shown]
	v_add_f64_e32 v[18:19], v[22:23], v[16:17]
	v_add_f64_e32 v[6:7], v[6:7], v[16:17]
	;; [unrolled: 1-line block ×3, first 2 shown]
	v_fma_f64 v[22:23], v[8:9], s[2:3], v[72:73]
	v_add_f64_e32 v[34:35], v[66:67], v[26:27]
	v_fma_f64 v[32:33], v[8:9], s[2:3], v[74:75]
	v_fma_f64 v[8:9], v[8:9], s[2:3], v[64:65]
	v_add_f64_e32 v[10:11], v[10:11], v[26:27]
	v_add_f64_e32 v[24:25], v[24:25], v[26:27]
	v_fma_f64 v[26:27], v[0:1], s[2:3], v[28:29]
	v_fma_f64 v[28:29], v[0:1], s[2:3], v[76:77]
	v_add_f64_e32 v[20:21], v[20:21], v[70:71]
	v_add_f64_e32 v[4:5], v[4:5], v[70:71]
	v_fma_f64 v[0:1], v[0:1], s[2:3], v[30:31]
	v_add_f64_e32 v[30:31], v[68:69], v[70:71]
	v_add_f64_e64 v[64:65], v[18:19], -v[14:15]
	v_add_f64_e64 v[66:67], v[6:7], -v[2:3]
	v_add_f64_e32 v[68:69], v[12:13], v[16:17]
	v_add_f64_e64 v[70:71], v[16:17], -v[12:13]
	v_add_f64_e32 v[72:73], v[2:3], v[6:7]
	v_add_f64_e32 v[74:75], v[14:15], v[18:19]
	v_add_f64_e64 v[76:77], v[34:35], -v[22:23]
	v_add_f64_e64 v[78:79], v[10:11], -v[8:9]
	v_add_f64_e32 v[80:81], v[32:33], v[24:25]
	v_add_f64_e64 v[82:83], v[24:25], -v[32:33]
	v_add_f64_e32 v[84:85], v[8:9], v[10:11]
	;; [unrolled: 2-line block ×4, first 2 shown]
	v_add_nc_u32_e32 v20, 0x1400, v164
	v_add_nc_u32_e32 v21, 0x2800, v164
	;; [unrolled: 1-line block ×4, first 2 shown]
	v_add_f64_e32 v[86:87], v[22:23], v[34:35]
	v_add_f64_e64 v[92:93], v[30:31], -v[0:1]
	v_add_f64_e32 v[104:105], v[0:1], v[30:31]
	ds_load_b64 v[126:127], v170
	ds_load_b64 v[124:125], v169
	;; [unrolled: 1-line block ×3, first 2 shown]
	ds_load_b64 v[128:129], v164 offset:12096
	ds_load_2addr_b64 v[4:7], v108 offset0:118 offset1:181
	ds_load_2addr_b64 v[8:11], v109 offset0:114 offset1:177
	ds_load_2addr_b64 v[0:3], v110 offset0:108 offset1:171
	ds_load_2addr_b64 v[12:15], v111 offset0:122 offset1:185
	ds_load_2addr_b64 v[16:19], v112 offset0:112 offset1:175
	ds_load_2addr_b64 v[24:27], v20 offset0:116 offset1:179
	ds_load_2addr_b64 v[20:23], v21 offset0:106 offset1:169
	ds_load_2addr_b64 v[28:31], v28 offset0:120 offset1:183
	ds_load_2addr_b64 v[32:35], v32 offset0:110 offset1:173
	global_wb scope:SCOPE_SE
	s_wait_dscnt 0x0
	s_barrier_signal -1
	s_barrier_wait -1
	global_inv scope:SCOPE_SE
	ds_store_2addr_b64 v60, v[90:91], v[64:65] offset1:45
	ds_store_2addr_b64 v60, v[66:67], v[68:69] offset0:90 offset1:135
	ds_store_2addr_b64 v60, v[70:71], v[72:73] offset0:180 offset1:225
	ds_store_b64 v60, v[74:75] offset:2160
	ds_store_2addr_b64 v62, v[94:95], v[76:77] offset1:45
	ds_store_2addr_b64 v62, v[78:79], v[80:81] offset0:90 offset1:135
	ds_store_2addr_b64 v62, v[82:83], v[84:85] offset0:180 offset1:225
	ds_store_b64 v62, v[86:87] offset:2160
	;; [unrolled: 4-line block ×3, first 2 shown]
	s_and_saveexec_b32 s1, s0
	s_cbranch_execz .LBB0_35
; %bb.34:
	v_add_f64_e32 v[40:41], v[40:41], v[58:59]
	v_add_f64_e32 v[42:43], v[42:43], v[56:57]
	;; [unrolled: 1-line block ×3, first 2 shown]
	v_add_f64_e64 v[38:39], v[38:39], -v[52:53]
	v_add_f64_e64 v[44:45], v[48:49], -v[44:45]
	v_add_f64_e64 v[36:37], v[36:37], -v[54:55]
	s_mov_b32 s2, 0x37e14327
	s_mov_b32 s3, 0x3fe948f6
	;; [unrolled: 1-line block ×10, first 2 shown]
	v_add_f64_e32 v[48:49], v[42:43], v[40:41]
	v_add_f64_e64 v[50:51], v[40:41], -v[46:47]
	v_add_f64_e64 v[52:53], v[46:47], -v[42:43]
	;; [unrolled: 1-line block ×5, first 2 shown]
	v_add_f64_e32 v[38:39], v[44:45], v[38:39]
	v_add_f64_e64 v[42:43], v[36:37], -v[44:45]
	v_add_f64_e32 v[46:47], v[46:47], v[48:49]
	s_wait_alu 0xfffe
	v_mul_f64_e32 v[44:45], s[2:3], v[50:51]
	s_mov_b32 s2, 0x429ad128
	v_mul_f64_e32 v[48:49], s[6:7], v[52:53]
	v_mul_f64_e32 v[50:51], s[12:13], v[54:55]
	s_mov_b32 s3, 0xbfebfeb5
	s_mov_b32 s12, 0xaaaaaaaa
	s_wait_alu 0xfffe
	v_mul_f64_e32 v[54:55], s[2:3], v[56:57]
	s_mov_b32 s13, 0xbff2aaaa
	v_add_f64_e32 v[36:37], v[38:39], v[36:37]
	v_add_f64_e32 v[58:59], v[100:101], v[46:47]
	v_fma_f64 v[38:39], v[52:53], s[6:7], v[44:45]
	v_fma_f64 v[48:49], v[40:41], s[14:15], -v[48:49]
	s_mov_b32 s15, 0xbfe77f67
	v_fma_f64 v[52:53], v[42:43], s[16:17], v[50:51]
	s_mov_b32 s17, 0x3fd5d0dc
	v_fma_f64 v[50:51], v[56:57], s[2:3], -v[50:51]
	s_wait_alu 0xfffe
	v_fma_f64 v[42:43], v[42:43], s[16:17], -v[54:55]
	v_fma_f64 v[40:41], v[40:41], s[14:15], -v[44:45]
	s_mov_b32 s2, 0x37c3f68c
	s_mov_b32 s3, 0xbfdc38aa
	v_fma_f64 v[46:47], v[46:47], s[12:13], v[58:59]
	s_wait_alu 0xfffe
	v_fma_f64 v[44:45], v[36:37], s[2:3], v[52:53]
	v_fma_f64 v[50:51], v[36:37], s[2:3], v[50:51]
	;; [unrolled: 1-line block ×3, first 2 shown]
	s_delay_alu instid0(VALU_DEP_4) | instskip(SKIP_2) | instid1(VALU_DEP_3)
	v_add_f64_e32 v[38:39], v[38:39], v[46:47]
	v_add_f64_e32 v[40:41], v[40:41], v[46:47]
	;; [unrolled: 1-line block ×3, first 2 shown]
	v_add_f64_e64 v[46:47], v[38:39], -v[44:45]
	s_delay_alu instid0(VALU_DEP_3) | instskip(NEXT) | instid1(VALU_DEP_3)
	v_add_f64_e64 v[48:49], v[40:41], -v[36:37]
	v_add_f64_e32 v[52:53], v[50:51], v[42:43]
	v_add_f64_e64 v[42:43], v[42:43], -v[50:51]
	v_add_f64_e32 v[36:37], v[36:37], v[40:41]
	v_add_f64_e32 v[38:39], v[44:45], v[38:39]
	v_add_nc_u32_e32 v40, 0x2400, v61
	v_add_nc_u32_e32 v41, 0x2800, v61
	ds_store_2addr_b64 v40, v[58:59], v[46:47] offset0:108 offset1:153
	ds_store_2addr_b64 v41, v[48:49], v[52:53] offset0:70 offset1:115
	;; [unrolled: 1-line block ×3, first 2 shown]
	ds_store_b64 v61, v[38:39] offset:12240
.LBB0_35:
	s_wait_alu 0xfffe
	s_or_b32 exec_lo, exec_lo, s1
	global_wb scope:SCOPE_SE
	s_wait_dscnt 0x0
	s_barrier_signal -1
	s_barrier_wait -1
	global_inv scope:SCOPE_SE
	s_and_saveexec_b32 s0, vcc_lo
	s_cbranch_execz .LBB0_37
; %bb.36:
	v_dual_mov_b32 v73, 0 :: v_dual_lshlrev_b32 v72, 2, v165
	v_add_nc_u32_e32 v228, 0x276, v153
	v_mad_co_u64_u32 v[191:192], null, s8, v153, 0
	v_mad_co_u64_u32 v[193:194], null, s8, v159, 0
	s_delay_alu instid0(VALU_DEP_4)
	v_lshlrev_b64_e32 v[36:37], 4, v[72:73]
	v_mad_co_u64_u32 v[195:196], null, s8, v156, 0
	v_add_nc_u32_e32 v234, 0x2f4, v153
	v_mad_co_u64_u32 v[203:204], null, s8, v228, 0
	v_lshlrev_b32_e32 v72, 2, v163
	v_mad_co_u64_u32 v[197:198], null, s8, v158, 0
	v_mad_co_u64_u32 v[199:200], null, s8, v155, 0
	;; [unrolled: 1-line block ×4, first 2 shown]
	v_add_co_u32 v52, vcc_lo, s4, v36
	v_mad_co_u64_u32 v[221:222], null, s9, v153, v[192:193]
	s_wait_alu 0xfffd
	v_add_co_ci_u32_e32 v53, vcc_lo, s5, v37, vcc_lo
	v_mad_co_u64_u32 v[222:223], null, s9, v159, v[194:195]
	v_mov_b32_e32 v159, v204
	v_lshlrev_b64_e32 v[36:37], 4, v[72:73]
	v_lshlrev_b32_e32 v72, 2, v162
	v_mad_co_u64_u32 v[223:224], null, s9, v156, v[196:197]
	v_mad_co_u64_u32 v[224:225], null, s9, v158, v[198:199]
	;; [unrolled: 1-line block ×3, first 2 shown]
	v_mov_b32_e32 v155, v216
	v_lshlrev_b64_e32 v[62:63], 4, v[72:73]
	v_add_co_u32 v60, vcc_lo, s4, v36
	s_wait_alu 0xfffd
	v_add_co_ci_u32_e32 v61, vcc_lo, s5, v37, vcc_lo
	global_load_b128 v[40:43], v[52:53], off offset:5024
	v_add_co_u32 v74, vcc_lo, s4, v62
	s_clause 0x4
	global_load_b128 v[48:51], v[60:61], off offset:5024
	global_load_b128 v[36:39], v[52:53], off offset:4992
	;; [unrolled: 1-line block ×5, first 2 shown]
	s_wait_alu 0xfffd
	v_add_co_ci_u32_e32 v75, vcc_lo, s5, v63, vcc_lo
	s_clause 0x1
	global_load_b128 v[64:67], v[60:61], off offset:5008
	global_load_b128 v[60:63], v[60:61], off offset:5040
	v_mad_co_u64_u32 v[226:227], null, s9, v157, v[202:203]
	v_add_nc_u32_e32 v235, 0x42f, v153
	v_add_nc_u32_e32 v236, 0x56a, v153
	v_mad_co_u64_u32 v[227:228], null, s9, v228, v[159:160]
	s_clause 0x3
	global_load_b128 v[76:79], v[74:75], off offset:5008
	global_load_b128 v[68:71], v[74:75], off offset:5040
	;; [unrolled: 1-line block ×4, first 2 shown]
	v_dual_mov_b32 v202, v226 :: v_dual_add_nc_u32 v229, 0x3b1, v153
	v_mad_co_u64_u32 v[217:218], null, s8, v235, 0
	v_lshlrev_b32_e32 v72, 2, v161
	v_mad_co_u64_u32 v[219:220], null, s8, v236, 0
	v_add_nc_u32_e32 v230, 0x4ec, v153
	v_dual_mov_b32 v198, v224 :: v_dual_add_nc_u32 v231, 0x2b5, v153
	v_mov_b32_e32 v157, v218
	v_lshlrev_b64_e32 v[88:89], 4, v[72:73]
	v_dual_mov_b32 v159, v220 :: v_dual_lshlrev_b32 v72, 2, v153
	v_add_nc_u32_e32 v232, 0x3f0, v153
	v_dual_mov_b32 v200, v225 :: v_dual_add_nc_u32 v233, 0x52b, v153
	s_delay_alu instid0(VALU_DEP_3)
	v_lshlrev_b64_e32 v[100:101], 4, v[72:73]
	v_add_co_u32 v96, vcc_lo, s4, v88
	s_wait_alu 0xfffd
	v_add_co_ci_u32_e32 v97, vcc_lo, s5, v89, vcc_lo
	s_clause 0x3
	global_load_b128 v[88:91], v[96:97], off offset:5008
	global_load_b128 v[72:75], v[96:97], off offset:5040
	;; [unrolled: 1-line block ×4, first 2 shown]
	v_add_co_u32 v108, vcc_lo, s4, v100
	s_wait_alu 0xfffd
	v_add_co_ci_u32_e32 v109, vcc_lo, s5, v101, vcc_lo
	s_clause 0x3
	global_load_b128 v[100:103], v[108:109], off offset:5008
	global_load_b128 v[104:107], v[108:109], off offset:4992
	;; [unrolled: 1-line block ×4, first 2 shown]
	v_mad_co_u64_u32 v[205:206], null, s8, v229, 0
	v_mad_co_u64_u32 v[207:208], null, s8, v230, 0
	;; [unrolled: 1-line block ×5, first 2 shown]
	v_dual_mov_b32 v192, v206 :: v_dual_add_nc_u32 v161, 0x2000, v164
	v_add_nc_u32_e32 v142, 0x1800, v164
	v_dual_mov_b32 v194, v208 :: v_dual_add_nc_u32 v165, 0x1400, v164
	v_add_nc_u32_e32 v146, 0xc00, v164
	v_dual_mov_b32 v156, v210 :: v_dual_add_nc_u32 v171, 0x2800, v164
	ds_load_b64 v[150:151], v170
	ds_load_b64 v[140:141], v169
	;; [unrolled: 1-line block ×3, first 2 shown]
	v_dual_mov_b32 v158, v212 :: v_dual_add_nc_u32 v173, 0x800, v164
	ds_load_b64 v[134:135], v167
	ds_load_b64 v[130:131], v166
	ds_load_b64 v[189:190], v164 offset:12096
	ds_load_b64 v[132:133], v164
	v_dual_mov_b32 v196, v214 :: v_dual_add_nc_u32 v177, 0x1c00, v164
	v_add_nc_u32_e32 v181, 0x1000, v164
	v_add_nc_u32_e32 v185, 0x2400, v164
	v_mad_co_u64_u32 v[228:229], null, s9, v229, v[192:193]
	v_mad_co_u64_u32 v[229:230], null, s9, v230, v[194:195]
	v_mov_b32_e32 v194, v222
	v_mov_b32_e32 v192, v221
	ds_load_2addr_b64 v[142:145], v142 offset0:114 offset1:177
	ds_load_2addr_b64 v[146:149], v146 offset0:120 offset1:183
	;; [unrolled: 1-line block ×9, first 2 shown]
	v_mad_co_u64_u32 v[230:231], null, s9, v231, v[156:157]
	v_mad_co_u64_u32 v[231:232], null, s9, v232, v[158:159]
	;; [unrolled: 1-line block ×5, first 2 shown]
	v_mov_b32_e32 v204, v227
	v_mov_b32_e32 v208, v229
	v_mov_b32_e32 v212, v231
	v_mov_b32_e32 v196, v223
	v_mov_b32_e32 v206, v228
	v_mov_b32_e32 v210, v230
	v_mov_b32_e32 v214, v232
	v_mad_co_u64_u32 v[157:158], null, s9, v236, v[159:160]
	v_mov_b32_e32 v216, v155
	v_mov_b32_e32 v218, v156
	v_lshlrev_b64_e32 v[155:156], 4, v[203:204]
	v_lshlrev_b64_e32 v[203:204], 4, v[207:208]
	;; [unrolled: 1-line block ×12, first 2 shown]
	v_add_co_u32 v138, vcc_lo, s10, v138
	s_wait_alu 0xfffd
	v_add_co_ci_u32_e32 v139, vcc_lo, s11, v139, vcc_lo
	s_mov_b32 s6, 0x134454ff
	s_delay_alu instid0(VALU_DEP_2) | instskip(SKIP_1) | instid1(VALU_DEP_2)
	v_add_co_u32 v158, vcc_lo, v138, v158
	s_wait_alu 0xfffd
	v_add_co_ci_u32_e32 v159, vcc_lo, v139, v159, vcc_lo
	v_add_co_u32 v191, vcc_lo, v138, v191
	s_wait_alu 0xfffd
	v_add_co_ci_u32_e32 v192, vcc_lo, v139, v192, vcc_lo
	;; [unrolled: 3-line block ×10, first 2 shown]
	s_mov_b32 s7, 0x3fee6f0e
	s_mov_b32 s13, 0xbfee6f0e
	s_wait_alu 0xfffe
	s_mov_b32 s12, s6
	s_mov_b32 s2, 0x4755a5e
	;; [unrolled: 1-line block ×4, first 2 shown]
	s_wait_alu 0xfffe
	s_mov_b32 s4, s2
	s_mov_b32 s0, 0x372fe950
	s_mov_b32 s1, 0x3fd3c6ef
	s_wait_loadcnt 0x13
	v_mul_f64_e32 v[211:212], v[34:35], v[42:43]
	s_wait_dscnt 0x6
	v_mul_f64_e32 v[42:43], v[163:164], v[42:43]
	s_wait_loadcnt 0x12
	v_mul_f64_e32 v[213:214], v[32:33], v[50:51]
	v_mul_f64_e32 v[50:51], v[161:162], v[50:51]
	s_wait_loadcnt 0x11
	v_mul_f64_e32 v[220:221], v[30:31], v[38:39]
	;; [unrolled: 3-line block ×6, first 2 shown]
	s_wait_loadcnt 0xc
	v_mul_f64_e32 v[230:231], v[22:23], v[62:63]
	s_wait_dscnt 0x5
	v_mul_f64_e32 v[66:67], v[167:168], v[66:67]
	s_wait_dscnt 0x4
	v_mul_f64_e32 v[62:63], v[171:172], v[62:63]
	s_wait_loadcnt 0xb
	v_mul_f64_e32 v[232:233], v[24:25], v[78:79]
	v_mul_f64_e32 v[78:79], v[165:166], v[78:79]
	v_fma_f64 v[163:164], v[40:41], v[163:164], -v[211:212]
	v_fma_f64 v[34:35], v[34:35], v[40:41], v[42:43]
	s_wait_loadcnt 0x8
	v_mul_f64_e32 v[40:41], v[14:15], v[86:87]
	v_mul_f64_e32 v[42:43], v[18:19], v[82:83]
	v_mul_f64_e32 v[211:212], v[20:21], v[70:71]
	v_fma_f64 v[161:162], v[48:49], v[161:162], -v[213:214]
	v_fma_f64 v[32:33], v[32:33], v[48:49], v[50:51]
	s_wait_dscnt 0x2
	v_mul_f64_e32 v[48:49], v[179:180], v[82:83]
	v_mul_f64_e32 v[50:51], v[175:176], v[86:87]
	;; [unrolled: 1-line block ×3, first 2 shown]
	s_wait_loadcnt 0x7
	v_mul_f64_e32 v[82:83], v[6:7], v[90:91]
	v_fma_f64 v[86:87], v[36:37], v[148:149], -v[220:221]
	v_fma_f64 v[30:31], v[30:31], v[36:37], v[38:39]
	s_wait_loadcnt 0x4
	v_mul_f64_e32 v[36:37], v[12:13], v[98:99]
	v_mul_f64_e32 v[38:39], v[16:17], v[94:95]
	v_fma_f64 v[146:147], v[44:45], v[146:147], -v[222:223]
	v_mul_f64_e32 v[148:149], v[2:3], v[74:75]
	s_wait_dscnt 0x1
	v_mul_f64_e32 v[90:91], v[183:184], v[90:91]
	v_fma_f64 v[28:29], v[28:29], v[44:45], v[46:47]
	v_mul_f64_e32 v[44:45], v[177:178], v[94:95]
	v_mul_f64_e32 v[46:47], v[173:174], v[98:99]
	s_wait_dscnt 0x0
	v_mul_f64_e32 v[74:75], v[187:188], v[74:75]
	s_wait_loadcnt 0x3
	v_mul_f64_e32 v[94:95], v[4:5], v[102:103]
	v_fma_f64 v[98:99], v[56:57], v[189:190], -v[224:225]
	s_wait_loadcnt 0x2
	v_mul_f64_e32 v[189:190], v[126:127], v[106:107]
	v_fma_f64 v[56:57], v[128:129], v[56:57], v[58:59]
	s_wait_loadcnt 0x1
	v_mul_f64_e32 v[58:59], v[10:11], v[114:115]
	s_wait_loadcnt 0x0
	v_mul_f64_e32 v[128:129], v[0:1], v[110:111]
	v_mul_f64_e32 v[102:103], v[181:182], v[102:103]
	v_fma_f64 v[142:143], v[52:53], v[142:143], -v[226:227]
	v_fma_f64 v[8:9], v[8:9], v[52:53], v[54:55]
	v_mul_f64_e32 v[52:53], v[144:145], v[114:115]
	v_mul_f64_e32 v[54:55], v[150:151], v[106:107]
	v_fma_f64 v[106:107], v[64:65], v[167:168], -v[228:229]
	v_fma_f64 v[26:27], v[26:27], v[64:65], v[66:67]
	v_fma_f64 v[66:67], v[60:61], v[171:172], -v[230:231]
	v_fma_f64 v[60:61], v[22:23], v[60:61], v[62:63]
	v_mul_f64_e32 v[64:65], v[185:186], v[110:111]
	v_fma_f64 v[22:23], v[76:77], v[165:166], -v[232:233]
	v_fma_f64 v[24:25], v[24:25], v[76:77], v[78:79]
	v_fma_f64 v[40:41], v[84:85], v[175:176], -v[40:41]
	v_fma_f64 v[42:43], v[80:81], v[179:180], -v[42:43]
	;; [unrolled: 1-line block ×3, first 2 shown]
	v_add_co_u32 v110, vcc_lo, v138, v207
	v_fma_f64 v[18:19], v[18:19], v[80:81], v[48:49]
	v_fma_f64 v[14:15], v[14:15], v[84:85], v[50:51]
	;; [unrolled: 1-line block ×3, first 2 shown]
	v_fma_f64 v[48:49], v[88:89], v[183:184], -v[82:83]
	s_wait_alu 0xfffd
	v_add_co_ci_u32_e32 v111, vcc_lo, v139, v208, vcc_lo
	v_fma_f64 v[36:37], v[96:97], v[173:174], -v[36:37]
	v_fma_f64 v[38:39], v[92:93], v[177:178], -v[38:39]
	v_add_co_u32 v114, vcc_lo, v138, v209
	v_fma_f64 v[50:51], v[72:73], v[187:188], -v[148:149]
	v_fma_f64 v[6:7], v[6:7], v[88:89], v[90:91]
	v_fma_f64 v[16:17], v[16:17], v[92:93], v[44:45]
	v_fma_f64 v[12:13], v[12:13], v[96:97], v[46:47]
	v_fma_f64 v[44:45], v[2:3], v[72:73], v[74:75]
	v_fma_f64 v[2:3], v[100:101], v[181:182], -v[94:95]
	v_add_f64_e32 v[72:73], v[86:87], v[98:99]
	v_fma_f64 v[46:47], v[104:105], v[150:151], -v[189:190]
	v_add_f64_e32 v[90:91], v[30:31], v[56:57]
	v_fma_f64 v[58:59], v[112:113], v[144:145], -v[58:59]
	v_fma_f64 v[68:69], v[108:109], v[185:186], -v[128:129]
	v_fma_f64 v[4:5], v[4:5], v[100:101], v[102:103]
	v_add_f64_e64 v[76:77], v[86:87], -v[142:143]
	v_add_f64_e32 v[100:101], v[8:9], v[34:35]
	v_fma_f64 v[10:11], v[10:11], v[112:113], v[52:53]
	v_fma_f64 v[52:53], v[126:127], v[104:105], v[54:55]
	v_add_f64_e64 v[128:129], v[146:147], -v[106:107]
	v_add_f64_e64 v[175:176], v[28:29], -v[26:27]
	v_add_f64_e64 v[144:145], v[66:67], -v[161:162]
	v_add_f64_e64 v[177:178], v[60:61], -v[32:33]
	v_fma_f64 v[54:55], v[0:1], v[108:109], v[64:65]
	v_add_f64_e64 v[165:166], v[26:27], -v[28:29]
	v_add_f64_e64 v[169:170], v[32:33], -v[60:61]
	;; [unrolled: 1-line block ×5, first 2 shown]
	v_add_f64_e32 v[80:81], v[142:143], v[163:164]
	v_add_f64_e32 v[112:113], v[146:147], v[66:67]
	;; [unrolled: 1-line block ×3, first 2 shown]
	v_add_f64_e64 v[187:188], v[40:41], -v[22:23]
	v_add_f64_e64 v[189:190], v[62:63], -v[42:43]
	v_lshlrev_b64_e32 v[207:208], 4, v[215:216]
	v_add_f64_e64 v[74:75], v[30:31], -v[56:57]
	v_add_f64_e32 v[82:83], v[86:87], v[140:141]
	v_add_f64_e64 v[84:85], v[8:9], -v[30:31]
	v_add_f64_e64 v[88:89], v[34:35], -v[56:57]
	;; [unrolled: 1-line block ×4, first 2 shown]
	v_add_f64_e32 v[30:31], v[124:125], v[30:31]
	v_add_f64_e64 v[102:103], v[106:107], -v[146:147]
	v_add_f64_e64 v[104:105], v[161:162], -v[66:67]
	;; [unrolled: 1-line block ×3, first 2 shown]
	v_add_f64_e32 v[150:151], v[146:147], v[136:137]
	v_add_f64_e32 v[171:172], v[28:29], v[60:61]
	;; [unrolled: 1-line block ×4, first 2 shown]
	v_add_f64_e64 v[181:182], v[22:23], -v[40:41]
	v_add_f64_e64 v[183:184], v[42:43], -v[62:63]
	;; [unrolled: 1-line block ×4, first 2 shown]
	v_add_f64_e32 v[220:221], v[14:15], v[20:21]
	v_add_f64_e32 v[226:227], v[24:25], v[18:19]
	v_add_f64_e64 v[230:231], v[48:49], -v[36:37]
	v_add_f64_e64 v[232:233], v[38:39], -v[50:51]
	v_add_f64_e32 v[234:235], v[36:37], v[50:51]
	v_fma_f64 v[90:91], v[90:91], -0.5, v[124:125]
	v_fma_f64 v[100:101], v[100:101], -0.5, v[124:125]
	v_add_f64_e32 v[124:125], v[46:47], v[68:69]
	v_add_f64_e32 v[128:129], v[128:129], v[144:145]
	;; [unrolled: 1-line block ×5, first 2 shown]
	s_wait_alu 0xfffd
	v_add_co_ci_u32_e32 v115, vcc_lo, v139, v210, vcc_lo
	v_add_f64_e32 v[185:186], v[40:41], v[62:63]
	v_add_f64_e32 v[209:210], v[22:23], v[42:43]
	;; [unrolled: 1-line block ×7, first 2 shown]
	v_add_f64_e64 v[0:1], v[12:13], -v[6:7]
	v_add_f64_e32 v[76:77], v[76:77], v[78:79]
	v_add_f64_e64 v[78:79], v[44:45], -v[16:17]
	v_fma_f64 v[72:73], v[72:73], -0.5, v[140:141]
	v_fma_f64 v[80:81], v[80:81], -0.5, v[140:141]
	v_add_f64_e32 v[140:141], v[6:7], v[16:17]
	v_add_f64_e64 v[222:223], v[14:15], -v[24:25]
	v_add_f64_e64 v[224:225], v[20:21], -v[18:19]
	v_add_f64_e32 v[248:249], v[12:13], v[44:45]
	v_add_f64_e32 v[211:212], v[40:41], v[134:135]
	;; [unrolled: 1-line block ×3, first 2 shown]
	v_fma_f64 v[112:113], v[112:113], -0.5, v[136:137]
	v_fma_f64 v[136:137], v[148:149], -0.5, v[136:137]
	v_add_f64_e32 v[148:149], v[46:47], v[132:133]
	v_add_f64_e32 v[187:188], v[187:188], v[189:190]
	;; [unrolled: 1-line block ×3, first 2 shown]
	v_add_f64_e64 v[70:71], v[8:9], -v[34:35]
	v_add_f64_e64 v[86:87], v[86:87], -v[98:99]
	;; [unrolled: 1-line block ×5, first 2 shown]
	v_add_f64_e32 v[82:83], v[142:143], v[82:83]
	v_add_f64_e32 v[142:143], v[118:119], v[12:13]
	;; [unrolled: 1-line block ×3, first 2 shown]
	v_add_f64_e64 v[88:89], v[2:3], -v[46:47]
	v_add_f64_e32 v[94:95], v[94:95], v[96:97]
	v_add_f64_e64 v[96:97], v[58:59], -v[68:69]
	v_add_f64_e32 v[8:9], v[8:9], v[30:31]
	;; [unrolled: 2-line block ×4, first 2 shown]
	v_add_f64_e64 v[150:151], v[4:5], -v[52:53]
	v_fma_f64 v[171:172], v[171:172], -0.5, v[122:123]
	v_fma_f64 v[122:123], v[179:180], -0.5, v[122:123]
	v_add_f64_e64 v[179:180], v[10:11], -v[54:55]
	v_add_f64_e32 v[26:27], v[26:27], v[28:29]
	v_add_f64_e64 v[28:29], v[52:53], -v[4:5]
	v_add_f64_e32 v[181:182], v[181:182], v[183:184]
	;; [unrolled: 2-line block ×3, first 2 shown]
	v_add_f64_e64 v[215:216], v[6:7], -v[16:17]
	v_fma_f64 v[220:221], v[220:221], -0.5, v[120:121]
	v_fma_f64 v[120:121], v[226:227], -0.5, v[120:121]
	v_add_f64_e64 v[226:227], v[4:5], -v[10:11]
	v_add_f64_e64 v[52:53], v[52:53], -v[54:55]
	;; [unrolled: 1-line block ×3, first 2 shown]
	v_add_f64_e32 v[230:231], v[230:231], v[232:233]
	v_fma_f64 v[232:233], v[234:235], -0.5, v[130:131]
	v_fma_f64 v[124:125], v[124:125], -0.5, v[132:133]
	;; [unrolled: 1-line block ×4, first 2 shown]
	v_add_f64_e64 v[244:245], v[6:7], -v[12:13]
	v_fma_f64 v[185:186], v[185:186], -0.5, v[134:135]
	v_fma_f64 v[134:135], v[209:210], -0.5, v[134:135]
	v_add_f64_e64 v[209:210], v[24:25], -v[18:19]
	v_add_f64_e64 v[12:13], v[12:13], -v[44:45]
	v_add_f64_e32 v[24:25], v[24:25], v[228:229]
	v_add_f64_e64 v[228:229], v[2:3], -v[58:59]
	v_fma_f64 v[130:131], v[240:241], -0.5, v[130:131]
	v_fma_f64 v[116:117], v[169:170], -0.5, v[116:117]
	v_add_f64_e64 v[236:237], v[36:37], -v[48:49]
	v_add_f64_e64 v[238:239], v[50:51], -v[38:39]
	;; [unrolled: 1-line block ×3, first 2 shown]
	v_add_f64_e32 v[78:79], v[0:1], v[78:79]
	v_fma_f64 v[0:1], v[140:141], -0.5, v[118:119]
	v_add_f64_e32 v[222:223], v[222:223], v[224:225]
	v_add_f64_e64 v[224:225], v[48:49], -v[38:39]
	v_fma_f64 v[144:145], v[248:249], -0.5, v[118:119]
	v_add_f64_e64 v[246:247], v[16:17], -v[44:45]
	v_add_f64_e64 v[14:15], v[14:15], -v[20:21]
	;; [unrolled: 1-line block ×4, first 2 shown]
	v_add_f64_e32 v[211:212], v[22:23], v[211:212]
	v_add_f64_e64 v[22:23], v[22:23], -v[42:43]
	v_add_f64_e32 v[48:49], v[48:49], v[242:243]
	v_add_f64_e32 v[2:3], v[2:3], v[148:149]
	;; [unrolled: 1-line block ×8, first 2 shown]
	v_fma_f64 v[28:29], v[70:71], s[6:7], v[72:73]
	v_fma_f64 v[30:31], v[70:71], s[12:13], v[72:73]
	;; [unrolled: 1-line block ×8, first 2 shown]
	v_add_f64_e32 v[169:170], v[26:27], v[32:33]
	v_fma_f64 v[26:27], v[215:216], s[6:7], v[232:233]
	v_fma_f64 v[32:33], v[215:216], s[12:13], v[232:233]
	;; [unrolled: 1-line block ×7, first 2 shown]
	v_add_f64_e32 v[106:107], v[161:162], v[106:107]
	v_fma_f64 v[150:151], v[173:174], s[12:13], v[171:172]
	v_fma_f64 v[161:162], v[173:174], s[6:7], v[171:172]
	;; [unrolled: 1-line block ×6, first 2 shown]
	v_add_f64_e32 v[234:235], v[236:237], v[238:239]
	v_fma_f64 v[130:131], v[12:13], s[6:7], v[130:131]
	v_fma_f64 v[238:239], v[36:37], s[12:13], v[0:1]
	;; [unrolled: 1-line block ×5, first 2 shown]
	v_add_f64_e32 v[236:237], v[244:245], v[246:247]
	v_fma_f64 v[242:243], v[14:15], s[6:7], v[134:135]
	v_fma_f64 v[244:245], v[40:41], s[12:13], v[120:121]
	v_add_f64_e32 v[82:83], v[163:164], v[82:83]
	v_add_f64_e32 v[148:149], v[8:9], v[34:35]
	v_fma_f64 v[8:9], v[108:109], s[6:7], v[112:113]
	v_fma_f64 v[34:35], v[108:109], s[12:13], v[112:113]
	;; [unrolled: 1-line block ×7, first 2 shown]
	v_add_f64_e32 v[42:43], v[42:43], v[211:212]
	v_fma_f64 v[211:212], v[22:23], s[12:13], v[220:221]
	v_fma_f64 v[220:221], v[22:23], s[6:7], v[220:221]
	;; [unrolled: 1-line block ×5, first 2 shown]
	v_add_f64_e32 v[18:19], v[24:25], v[18:19]
	v_add_f64_e32 v[24:25], v[38:39], v[48:49]
	;; [unrolled: 1-line block ×4, first 2 shown]
	v_fma_f64 v[72:73], v[70:71], s[2:3], v[72:73]
	s_wait_alu 0xfffe
	v_fma_f64 v[70:71], v[70:71], s[4:5], v[80:81]
	v_fma_f64 v[80:81], v[86:87], s[4:5], v[140:141]
	;; [unrolled: 1-line block ×18, first 2 shown]
	v_add_f64_e32 v[16:17], v[6:7], v[16:17]
	v_fma_f64 v[130:131], v[215:216], s[4:5], v[130:131]
	v_fma_f64 v[140:141], v[224:225], s[2:3], v[238:239]
	;; [unrolled: 1-line block ×20, first 2 shown]
	v_add_f64_e32 v[10:11], v[68:69], v[38:39]
	v_add_f64_e32 v[8:9], v[48:49], v[54:55]
	v_add_f64_e32 v[6:7], v[50:51], v[24:25]
	v_fma_f64 v[126:127], v[126:127], s[4:5], v[34:35]
	v_fma_f64 v[14:15], v[230:231], s[0:1], v[26:27]
	v_add_f64_e32 v[2:3], v[62:63], v[42:43]
	v_add_f64_e32 v[0:1], v[18:19], v[20:21]
	v_fma_f64 v[38:39], v[96:97], s[0:1], v[100:101]
	v_fma_f64 v[36:37], v[118:119], s[0:1], v[124:125]
	v_fma_f64 v[18:19], v[230:231], s[0:1], v[12:13]
	v_add_f64_e32 v[48:49], v[148:149], v[56:57]
	v_fma_f64 v[22:23], v[234:235], s[0:1], v[28:29]
	v_fma_f64 v[26:27], v[88:89], s[0:1], v[30:31]
	v_fma_f64 v[30:31], v[88:89], s[0:1], v[32:33]
	v_fma_f64 v[28:29], v[104:105], s[0:1], v[132:133]
	v_fma_f64 v[24:25], v[104:105], s[0:1], v[46:47]
	v_fma_f64 v[34:35], v[96:97], s[0:1], v[52:53]
	v_fma_f64 v[32:33], v[118:119], s[0:1], v[116:117]
	v_add_f64_e32 v[4:5], v[16:17], v[44:45]
	v_fma_f64 v[42:43], v[234:235], s[0:1], v[130:131]
	v_fma_f64 v[40:41], v[78:79], s[0:1], v[140:141]
	v_fma_f64 v[16:17], v[236:237], s[0:1], v[142:143]
	v_fma_f64 v[12:13], v[236:237], s[0:1], v[144:145]
	;; [unrolled: 8-line block ×3, first 2 shown]
	v_add_f64_e32 v[50:51], v[98:99], v[82:83]
	s_clause 0xb
	global_store_b128 v[158:159], v[8:11], off
	global_store_b128 v[191:192], v[36:39], off
	;; [unrolled: 1-line block ×12, first 2 shown]
	v_fma_f64 v[82:83], v[181:182], s[0:1], v[161:162]
	v_fma_f64 v[80:81], v[213:214], s[0:1], v[173:174]
	;; [unrolled: 1-line block ×4, first 2 shown]
	v_lshlrev_b64_e32 v[2:3], 4, v[217:218]
	v_mad_co_u64_u32 v[167:168], null, s8, v154, 0
	v_mov_b32_e32 v220, v157
	v_add_co_u32 v0, vcc_lo, v138, v207
	v_mad_co_u64_u32 v[5:6], null, s8, v160, 0
	v_add_f64_e32 v[54:55], v[66:67], v[106:107]
	s_wait_alu 0xfffd
	v_add_co_ci_u32_e32 v1, vcc_lo, v139, v208, vcc_lo
	v_add_co_u32 v2, vcc_lo, v138, v2
	v_lshlrev_b64_e32 v[7:8], 4, v[219:220]
	s_wait_alu 0xfffd
	v_add_co_ci_u32_e32 v3, vcc_lo, v139, v3, vcc_lo
	v_mov_b32_e32 v4, v168
	v_fma_f64 v[58:59], v[64:65], s[0:1], v[58:59]
	v_fma_f64 v[62:63], v[64:65], s[0:1], v[74:75]
	;; [unrolled: 1-line block ×6, first 2 shown]
	s_clause 0x1
	global_store_b128 v[0:1], v[84:87], off
	global_store_b128 v[2:3], v[80:83], off
	v_mov_b32_e32 v0, v6
	v_add_co_u32 v1, vcc_lo, v138, v7
	v_mad_co_u64_u32 v[9:10], null, s9, v154, v[4:5]
	v_add_nc_u32_e32 v11, 0x333, v153
	s_delay_alu instid0(VALU_DEP_3)
	v_mad_co_u64_u32 v[3:4], null, s9, v160, v[0:1]
	v_add_nc_u32_e32 v12, 0x46e, v153
	s_wait_alu 0xfffd
	v_add_co_ci_u32_e32 v2, vcc_lo, v139, v8, vcc_lo
	v_mov_b32_e32 v168, v9
	v_mad_co_u64_u32 v[7:8], null, s8, v11, 0
	v_mad_co_u64_u32 v[9:10], null, s8, v12, 0
	v_mov_b32_e32 v6, v3
	global_store_b128 v[1:2], v[96:99], off
	v_lshlrev_b64_e32 v[0:1], 4, v[167:168]
	v_mul_hi_u32 v13, 0xa01a01a1, v152
	v_mov_b32_e32 v4, v8
	v_lshlrev_b64_e32 v[2:3], 4, v[5:6]
	v_mov_b32_e32 v5, v10
	v_fma_f64 v[66:67], v[76:77], s[0:1], v[72:73]
	v_fma_f64 v[70:71], v[76:77], s[0:1], v[70:71]
	;; [unrolled: 1-line block ×6, first 2 shown]
	v_mad_co_u64_u32 v[10:11], null, s9, v11, v[4:5]
	v_add_co_u32 v0, vcc_lo, v138, v0
	v_add_nc_u32_e32 v14, 0x5a9, v153
	s_wait_alu 0xfffd
	v_add_co_ci_u32_e32 v1, vcc_lo, v139, v1, vcc_lo
	v_sub_nc_u32_e32 v8, v152, v13
	v_mad_co_u64_u32 v[4:5], null, s9, v12, v[5:6]
	v_mad_co_u64_u32 v[5:6], null, s8, v14, 0
	v_add_co_u32 v2, vcc_lo, v138, v2
	s_wait_alu 0xfffd
	v_add_co_ci_u32_e32 v3, vcc_lo, v139, v3, vcc_lo
	global_store_b128 v[0:1], v[52:55], off
	v_lshrrev_b32_e32 v1, 1, v8
	v_mov_b32_e32 v8, v10
	global_store_b128 v[2:3], v[92:95], off
	v_fma_f64 v[90:91], v[128:129], s[0:1], v[112:113]
	v_fma_f64 v[88:89], v[175:176], s[0:1], v[150:151]
	v_add_nc_u32_e32 v11, v1, v13
	v_lshlrev_b64_e32 v[1:2], 4, v[7:8]
	v_mov_b32_e32 v0, v6
	v_mov_b32_e32 v10, v4
	s_delay_alu instid0(VALU_DEP_2) | instskip(SKIP_1) | instid1(VALU_DEP_3)
	v_mad_co_u64_u32 v[6:7], null, s9, v14, v[0:1]
	v_lshrrev_b32_e32 v7, 8, v11
	v_lshlrev_b64_e32 v[3:4], 4, v[9:10]
	v_add_co_u32 v0, vcc_lo, v138, v1
	s_wait_alu 0xfffd
	v_add_co_ci_u32_e32 v1, vcc_lo, v139, v2, vcc_lo
	v_mad_u32_u24 v11, 0x4ec, v7, v152
	s_delay_alu instid0(VALU_DEP_4) | instskip(SKIP_2) | instid1(VALU_DEP_3)
	v_add_co_u32 v2, vcc_lo, v138, v3
	s_wait_alu 0xfffd
	v_add_co_ci_u32_e32 v3, vcc_lo, v139, v4, vcc_lo
	v_mad_co_u64_u32 v[7:8], null, s8, v11, 0
	v_add_nc_u32_e32 v12, 0x276, v11
	v_add_nc_u32_e32 v10, 0x13b, v11
	global_store_b128 v[0:1], v[76:79], off
	v_lshlrev_b64_e32 v[0:1], 4, v[5:6]
	global_store_b128 v[2:3], v[72:75], off
	v_mad_co_u64_u32 v[5:6], null, s8, v12, 0
	v_mad_co_u64_u32 v[2:3], null, s8, v10, 0
	v_mov_b32_e32 v4, v8
	v_add_nc_u32_e32 v14, 0x3b1, v11
	v_add_co_u32 v0, vcc_lo, v138, v0
	s_wait_alu 0xfffd
	v_add_co_ci_u32_e32 v1, vcc_lo, v139, v1, vcc_lo
	v_mad_co_u64_u32 v[8:9], null, s9, v11, v[4:5]
	v_mad_co_u64_u32 v[3:4], null, s9, v10, v[3:4]
	;; [unrolled: 1-line block ×3, first 2 shown]
	v_dual_mov_b32 v4, v6 :: v_dual_add_nc_u32 v15, 0x4ec, v11
	global_store_b128 v[0:1], v[88:91], off
	v_lshlrev_b64_e32 v[7:8], 4, v[7:8]
	v_lshlrev_b64_e32 v[2:3], 4, v[2:3]
	v_mad_co_u64_u32 v[11:12], null, s9, v12, v[4:5]
	v_mad_co_u64_u32 v[12:13], null, s8, v15, 0
	v_mov_b32_e32 v0, v10
	v_add_co_u32 v7, vcc_lo, v138, v7
	s_wait_alu 0xfffd
	v_add_co_ci_u32_e32 v8, vcc_lo, v139, v8, vcc_lo
	s_delay_alu instid0(VALU_DEP_3) | instskip(SKIP_1) | instid1(VALU_DEP_1)
	v_mad_co_u64_u32 v[0:1], null, s9, v14, v[0:1]
	v_dual_mov_b32 v1, v13 :: v_dual_mov_b32 v6, v11
	v_mad_co_u64_u32 v[13:14], null, s9, v15, v[1:2]
	s_delay_alu instid0(VALU_DEP_3) | instskip(NEXT) | instid1(VALU_DEP_3)
	v_mov_b32_e32 v10, v0
	v_lshlrev_b64_e32 v[4:5], 4, v[5:6]
	v_add_co_u32 v0, vcc_lo, v138, v2
	s_wait_alu 0xfffd
	v_add_co_ci_u32_e32 v1, vcc_lo, v139, v3, vcc_lo
	v_lshlrev_b64_e32 v[2:3], 4, v[9:10]
	s_delay_alu instid0(VALU_DEP_4) | instskip(SKIP_3) | instid1(VALU_DEP_4)
	v_add_co_u32 v4, vcc_lo, v138, v4
	v_lshlrev_b64_e32 v[9:10], 4, v[12:13]
	s_wait_alu 0xfffd
	v_add_co_ci_u32_e32 v5, vcc_lo, v139, v5, vcc_lo
	v_add_co_u32 v2, vcc_lo, v138, v2
	s_wait_alu 0xfffd
	v_add_co_ci_u32_e32 v3, vcc_lo, v139, v3, vcc_lo
	v_add_co_u32 v9, vcc_lo, v138, v9
	s_wait_alu 0xfffd
	v_add_co_ci_u32_e32 v10, vcc_lo, v139, v10, vcc_lo
	s_clause 0x4
	global_store_b128 v[7:8], v[48:51], off
	global_store_b128 v[0:1], v[68:71], off
	;; [unrolled: 1-line block ×5, first 2 shown]
.LBB0_37:
	s_nop 0
	s_sendmsg sendmsg(MSG_DEALLOC_VGPRS)
	s_endpgm
	.section	.rodata,"a",@progbits
	.p2align	6, 0x0
	.amdhsa_kernel fft_rtc_back_len1575_factors_3_3_5_7_5_wgs_63_tpt_63_halfLds_dp_ip_CI_sbrr_dirReg
		.amdhsa_group_segment_fixed_size 0
		.amdhsa_private_segment_fixed_size 0
		.amdhsa_kernarg_size 88
		.amdhsa_user_sgpr_count 2
		.amdhsa_user_sgpr_dispatch_ptr 0
		.amdhsa_user_sgpr_queue_ptr 0
		.amdhsa_user_sgpr_kernarg_segment_ptr 1
		.amdhsa_user_sgpr_dispatch_id 0
		.amdhsa_user_sgpr_private_segment_size 0
		.amdhsa_wavefront_size32 1
		.amdhsa_uses_dynamic_stack 0
		.amdhsa_enable_private_segment 0
		.amdhsa_system_sgpr_workgroup_id_x 1
		.amdhsa_system_sgpr_workgroup_id_y 0
		.amdhsa_system_sgpr_workgroup_id_z 0
		.amdhsa_system_sgpr_workgroup_info 0
		.amdhsa_system_vgpr_workitem_id 0
		.amdhsa_next_free_vgpr 250
		.amdhsa_next_free_sgpr 35
		.amdhsa_reserve_vcc 1
		.amdhsa_float_round_mode_32 0
		.amdhsa_float_round_mode_16_64 0
		.amdhsa_float_denorm_mode_32 3
		.amdhsa_float_denorm_mode_16_64 3
		.amdhsa_fp16_overflow 0
		.amdhsa_workgroup_processor_mode 1
		.amdhsa_memory_ordered 1
		.amdhsa_forward_progress 0
		.amdhsa_round_robin_scheduling 0
		.amdhsa_exception_fp_ieee_invalid_op 0
		.amdhsa_exception_fp_denorm_src 0
		.amdhsa_exception_fp_ieee_div_zero 0
		.amdhsa_exception_fp_ieee_overflow 0
		.amdhsa_exception_fp_ieee_underflow 0
		.amdhsa_exception_fp_ieee_inexact 0
		.amdhsa_exception_int_div_zero 0
	.end_amdhsa_kernel
	.text
.Lfunc_end0:
	.size	fft_rtc_back_len1575_factors_3_3_5_7_5_wgs_63_tpt_63_halfLds_dp_ip_CI_sbrr_dirReg, .Lfunc_end0-fft_rtc_back_len1575_factors_3_3_5_7_5_wgs_63_tpt_63_halfLds_dp_ip_CI_sbrr_dirReg
                                        ; -- End function
	.section	.AMDGPU.csdata,"",@progbits
; Kernel info:
; codeLenInByte = 22316
; NumSgprs: 37
; NumVgprs: 250
; ScratchSize: 0
; MemoryBound: 1
; FloatMode: 240
; IeeeMode: 1
; LDSByteSize: 0 bytes/workgroup (compile time only)
; SGPRBlocks: 4
; VGPRBlocks: 31
; NumSGPRsForWavesPerEU: 37
; NumVGPRsForWavesPerEU: 250
; Occupancy: 5
; WaveLimiterHint : 1
; COMPUTE_PGM_RSRC2:SCRATCH_EN: 0
; COMPUTE_PGM_RSRC2:USER_SGPR: 2
; COMPUTE_PGM_RSRC2:TRAP_HANDLER: 0
; COMPUTE_PGM_RSRC2:TGID_X_EN: 1
; COMPUTE_PGM_RSRC2:TGID_Y_EN: 0
; COMPUTE_PGM_RSRC2:TGID_Z_EN: 0
; COMPUTE_PGM_RSRC2:TIDIG_COMP_CNT: 0
	.text
	.p2alignl 7, 3214868480
	.fill 96, 4, 3214868480
	.type	__hip_cuid_de6f5cab5b2de200,@object ; @__hip_cuid_de6f5cab5b2de200
	.section	.bss,"aw",@nobits
	.globl	__hip_cuid_de6f5cab5b2de200
__hip_cuid_de6f5cab5b2de200:
	.byte	0                               ; 0x0
	.size	__hip_cuid_de6f5cab5b2de200, 1

	.ident	"AMD clang version 19.0.0git (https://github.com/RadeonOpenCompute/llvm-project roc-6.4.0 25133 c7fe45cf4b819c5991fe208aaa96edf142730f1d)"
	.section	".note.GNU-stack","",@progbits
	.addrsig
	.addrsig_sym __hip_cuid_de6f5cab5b2de200
	.amdgpu_metadata
---
amdhsa.kernels:
  - .args:
      - .actual_access:  read_only
        .address_space:  global
        .offset:         0
        .size:           8
        .value_kind:     global_buffer
      - .offset:         8
        .size:           8
        .value_kind:     by_value
      - .actual_access:  read_only
        .address_space:  global
        .offset:         16
        .size:           8
        .value_kind:     global_buffer
      - .actual_access:  read_only
        .address_space:  global
        .offset:         24
        .size:           8
        .value_kind:     global_buffer
      - .offset:         32
        .size:           8
        .value_kind:     by_value
      - .actual_access:  read_only
        .address_space:  global
        .offset:         40
        .size:           8
        .value_kind:     global_buffer
      - .actual_access:  read_only
        .address_space:  global
        .offset:         48
        .size:           8
        .value_kind:     global_buffer
      - .offset:         56
        .size:           4
        .value_kind:     by_value
      - .actual_access:  read_only
        .address_space:  global
        .offset:         64
        .size:           8
        .value_kind:     global_buffer
      - .actual_access:  read_only
        .address_space:  global
        .offset:         72
        .size:           8
        .value_kind:     global_buffer
      - .address_space:  global
        .offset:         80
        .size:           8
        .value_kind:     global_buffer
    .group_segment_fixed_size: 0
    .kernarg_segment_align: 8
    .kernarg_segment_size: 88
    .language:       OpenCL C
    .language_version:
      - 2
      - 0
    .max_flat_workgroup_size: 63
    .name:           fft_rtc_back_len1575_factors_3_3_5_7_5_wgs_63_tpt_63_halfLds_dp_ip_CI_sbrr_dirReg
    .private_segment_fixed_size: 0
    .sgpr_count:     37
    .sgpr_spill_count: 0
    .symbol:         fft_rtc_back_len1575_factors_3_3_5_7_5_wgs_63_tpt_63_halfLds_dp_ip_CI_sbrr_dirReg.kd
    .uniform_work_group_size: 1
    .uses_dynamic_stack: false
    .vgpr_count:     250
    .vgpr_spill_count: 0
    .wavefront_size: 32
    .workgroup_processor_mode: 1
amdhsa.target:   amdgcn-amd-amdhsa--gfx1201
amdhsa.version:
  - 1
  - 2
...

	.end_amdgpu_metadata
